;; amdgpu-corpus repo=ROCm/aiter kind=harvested arch=n/a opt=n/a

/root/src/amdgpu-assembly/repos/ROCm__aiter/hsa/gfx950/fmoe_2stages/fmoe_stage1_bf16_pertokenFp8_doweight_g1u1_96x128_pf3.co:	file format elf64-amdgpu

Disassembly of section .text:

0000000000002a00 <_ZN5aiter53fmoe_stage1_bf16_pertokenFp8_doweight_g1u1_96x128_pf3E>:
	s_and_b32 s1, s1, 0xffff                                   // 000000002A00: 8601FF01 0000FFFF
	s_load_dwordx2 s[8:9], s[0:1], 0x0                         // 000000002A08: C0060200 00000000
	s_load_dwordx2 s[20:21], s[0:1], 0x10                      // 000000002A10: C0060500 00000010
	s_load_dwordx2 s[24:25], s[0:1], 0x20                      // 000000002A18: C0060600 00000020
	s_load_dwordx2 s[48:49], s[0:1], 0x30                      // 000000002A20: C0060C00 00000030
	s_load_dwordx2 s[28:29], s[0:1], 0x40                      // 000000002A28: C0060700 00000040
	s_load_dwordx2 s[32:33], s[0:1], 0x50                      // 000000002A30: C0060800 00000050
	s_load_dwordx2 s[36:37], s[0:1], 0x60                      // 000000002A38: C0060900 00000060
	s_load_dwordx2 s[12:13], s[0:1], 0x70                      // 000000002A40: C0060300 00000070
	s_load_dwordx2 s[44:45], s[0:1], 0x80                      // 000000002A48: C0060B00 00000080
	s_mov_b32 s89, 0                                           // 000000002A50: BED90080
	s_load_dword s64, s[0:1], 0x90                             // 000000002A54: C0021000 00000090
	s_load_dword s65, s[0:1], 0xa0                             // 000000002A5C: C0021040 000000A0
	s_load_dword s66, s[0:1], 0xb0                             // 000000002A64: C0021080 000000B0
	s_load_dword s67, s[0:1], 0xc0                             // 000000002A6C: C00210C0 000000C0
	s_load_dword s68, s[0:1], 0xd0                             // 000000002A74: C0021100 000000D0
	s_load_dword s69, s[0:1], 0xe0                             // 000000002A7C: C0021140 000000E0
	s_load_dword s71, s[0:1], 0xf0                             // 000000002A84: C00211C0 000000F0
	s_load_dword s72, s[0:1], 0x100                            // 000000002A8C: C0021200 00000100
	s_load_dword s74, s[0:1], 0x110                            // 000000002A94: C0021280 00000110
	s_load_dword s76, s[0:1], 0x120                            // 000000002A9C: C0021300 00000120
	s_load_dword s56, s[0:1], 0x130                            // 000000002AA4: C0020E00 00000130
	s_load_dword s88, s[0:1], 0x140                            // 000000002AAC: C0021600 00000140
	s_load_dword s89, s[0:1], 0x150                            // 000000002AB4: C0021640 00000150
	s_load_dwordx2 s[40:41], s[0:1], 0x160                     // 000000002ABC: C0060A00 00000160
	v_lshrrev_b32_e32 v1, 10, v0                               // 000000002AC4: 2002008A
	v_lshrrev_b32_e32 v2, 10, v1                               // 000000002AC8: 2004028A
	v_and_b32_e32 v2, 0x3ff, v2                                // 000000002ACC: 260404FF 000003FF
	v_and_b32_e32 v1, 0x3ff, v1                                // 000000002AD4: 260202FF 000003FF
	v_and_b32_e32 v0, 0x3ff, v0                                // 000000002ADC: 260000FF 000003FF
	v_lshrrev_b32_e32 v3, 6, v0                                // 000000002AE4: 20060086
	v_and_b32_e32 v0, 63, v0                                   // 000000002AE8: 260000BF
	s_mov_b32 s2, s2                                           // 000000002AEC: BE820002
	s_mov_b32 s3, s3                                           // 000000002AF0: BE830003
	s_mov_b32 s4, s4                                           // 000000002AF4: BE840004
	v_readfirstlane_b32 s7, v3                                 // 000000002AF8: 7E0E0503
	s_waitcnt lgkmcnt(0)                                       // 000000002AFC: BF8CC07F
	s_and_b32 s49, s49, 0xffff                                 // 000000002B00: 8631FF31 0000FFFF
	s_load_dword s48, s[48:49], 0x0                            // 000000002B08: C0020C18 00000000
	s_and_b32 s45, s45, 0xffff                                 // 000000002B10: 862DFF2D 0000FFFF
	s_and_b32 s9, s9, 0xffff                                   // 000000002B18: 8609FF09 0000FFFF
	s_mul_i32 s60, s66, s68                                    // 000000002B20: 923C4442
	s_mul_i32 s61, s66, 4                                      // 000000002B24: 923D8442
	s_mov_b32 s22, s60                                         // 000000002B28: BE96003C
	s_mov_b32 s26, -16                                         // 000000002B2C: BE9A00D0
	s_mov_b32 s30, s61                                         // 000000002B30: BE9E003D
	s_mov_b32 s14, 0x180                                       // 000000002B34: BE8E00FF 00000180
	s_mov_b32 s38, -16                                         // 000000002B3C: BEA600D0
	s_mov_b32 s10, -16                                         // 000000002B40: BE8A00D0
	s_mov_b32 s34, 0x200                                       // 000000002B44: BEA200FF 00000200
	s_mov_b32 s23, 0x20000                                     // 000000002B4C: BE9700FF 00020000
	s_mov_b32 s27, 0x20000                                     // 000000002B54: BE9B00FF 00020000
	s_mov_b32 s31, 0x20000                                     // 000000002B5C: BE9F00FF 00020000
	s_mov_b32 s35, 0x20000                                     // 000000002B64: BEA300FF 00020000
	s_mov_b32 s15, 0x20000                                     // 000000002B6C: BE8F00FF 00020000
	s_mov_b32 s39, 0x20000                                     // 000000002B74: BEA700FF 00020000
	s_mov_b32 s11, 0x20000                                     // 000000002B7C: BE8B00FF 00020000
	s_and_b32 s21, s21, 0xffff                                 // 000000002B84: 8615FF15 0000FFFF
	s_and_b32 s25, s25, 0xffff                                 // 000000002B8C: 8619FF19 0000FFFF
	s_and_b32 s29, s29, 0xffff                                 // 000000002B94: 861DFF1D 0000FFFF
	s_and_b32 s33, s33, 0xffff                                 // 000000002B9C: 8621FF21 0000FFFF
	s_and_b32 s13, s13, 0xffff                                 // 000000002BA4: 860DFF0D 0000FFFF
	s_and_b32 s37, s37, 0xffff                                 // 000000002BAC: 8625FF25 0000FFFF
	s_or_b32 s21, s21, 0x40000                                 // 000000002BB4: 8715FF15 00040000
	s_or_b32 s25, s25, 0x40000                                 // 000000002BBC: 8719FF19 00040000
	s_or_b32 s29, s29, 0x40000                                 // 000000002BC4: 871DFF1D 00040000
	s_or_b32 s33, s33, 0x40000                                 // 000000002BCC: 8721FF21 00040000
	s_or_b32 s13, s13, 0x40000                                 // 000000002BD4: 870DFF0D 00040000
	s_or_b32 s37, s37, 0x40000                                 // 000000002BDC: 8725FF25 00040000
	s_mov_b32 s42, -16                                         // 000000002BE4: BEAA00D0
	s_mov_b32 s43, 0x20000                                     // 000000002BE8: BEAB00FF 00020000
	s_and_b32 s41, s41, 0xffff                                 // 000000002BF0: 8629FF29 0000FFFF
	s_or_b32 s41, s41, 0x40000                                 // 000000002BF8: 8729FF29 00040000
	v_accvgpr_write_b32 a143, 0                                // 000000002C00: D3D9408F 18000080
	v_mov_b32_e32 v169, 0                                      // 000000002C08: 7F520280
	s_waitcnt lgkmcnt(0)                                       // 000000002C0C: BF8CC07F
	s_mul_i32 s60, s3, 0x60                                    // 000000002C10: 923CFF03 00000060
	s_cmp_lt_i32 s60, s48                                      // 000000002C18: BF04303C
	s_cbranch_scc0 label_2E06                                  // 000000002C1C: BF842D7B
	s_mov_b32 s80, 0                                           // 000000002C20: BED00080
	s_lshr_b32 s81, s64, s88                                   // 000000002C24: 8F515840
	s_mul_i32 s60, s3, 4                                       // 000000002C28: 923C8403
	s_add_u32 s44, s60, s44                                    // 000000002C2C: 802C2C3C
	s_addc_u32 s45, 0, s45                                     // 000000002C30: 822D2D80
	s_load_dword s5, s[44:45], 0x0                             // 000000002C34: C0020156 00000000
	s_mul_i32 s60, s3, 0x60                                    // 000000002C3C: 923CFF03 00000060
	s_mul_i32 s60, 4, s60                                      // 000000002C44: 923C3C84
	s_add_u32 s12, s60, s12                                    // 000000002C48: 800C0C3C
	s_addc_u32 s13, 0, s13                                     // 000000002C4C: 820D0D80
	v_and_b32_e32 v4, 15, v0                                   // 000000002C50: 2608008F
	v_lshlrev_b32_e32 v4, 2, v4                                // 000000002C54: 24080882
	buffer_load_dword v30, v4, s[12:15], 0 offen               // 000000002C58: E0501000 80031E04
	v_add_u32_e32 v4, 64, v4                                   // 000000002C60: 680808C0
	buffer_load_dword v31, v4, s[12:15], 0 offen               // 000000002C64: E0501000 80031F04
	v_add_u32_e32 v4, 64, v4                                   // 000000002C6C: 680808C0
	buffer_load_dword v32, v4, s[12:15], 0 offen               // 000000002C70: E0501000 80032004
	v_add_u32_e32 v4, 64, v4                                   // 000000002C78: 680808C0
	buffer_load_dword v33, v4, s[12:15], 0 offen               // 000000002C7C: E0501000 80032104
	v_add_u32_e32 v4, 64, v4                                   // 000000002C84: 680808C0
	buffer_load_dword v34, v4, s[12:15], 0 offen               // 000000002C88: E0501000 80032204
	v_add_u32_e32 v4, 64, v4                                   // 000000002C90: 680808C0
	buffer_load_dword v35, v4, s[12:15], 0 offen               // 000000002C94: E0501000 80032304
	v_add_u32_e32 v4, 64, v4                                   // 000000002C9C: 680808C0
	s_mul_i32 s60, 4, s7                                       // 000000002CA0: 923C0784
	v_lshlrev_b32_e32 v4, 4, v0                                // 000000002CA4: 24080084
	v_add_u32_e32 v4, s60, v4                                  // 000000002CA8: 6808083C
	buffer_load_dword v3, v4, s[12:15], 0 offen                // 000000002CAC: E0501000 80030304
	v_mov_b32_e32 v68, 0                                       // 000000002CB4: 7E880280
	v_mov_b32_e32 v116, 0                                      // 000000002CB8: 7EE80280
	v_mov_b32_e32 v69, 0                                       // 000000002CBC: 7E8A0280
	v_mov_b32_e32 v117, 0                                      // 000000002CC0: 7EEA0280
	v_mov_b32_e32 v70, 0                                       // 000000002CC4: 7E8C0280
	v_mov_b32_e32 v118, 0                                      // 000000002CC8: 7EEC0280
	v_mov_b32_e32 v71, 0                                       // 000000002CCC: 7E8E0280
	v_mov_b32_e32 v119, 0                                      // 000000002CD0: 7EEE0280
	v_mov_b32_e32 v72, 0                                       // 000000002CD4: 7E900280
	v_mov_b32_e32 v120, 0                                      // 000000002CD8: 7EF00280
	v_mov_b32_e32 v73, 0                                       // 000000002CDC: 7E920280
	v_mov_b32_e32 v121, 0                                      // 000000002CE0: 7EF20280
	v_mov_b32_e32 v74, 0                                       // 000000002CE4: 7E940280
	v_mov_b32_e32 v122, 0                                      // 000000002CE8: 7EF40280
	v_mov_b32_e32 v75, 0                                       // 000000002CEC: 7E960280
	v_mov_b32_e32 v123, 0                                      // 000000002CF0: 7EF60280
	v_mov_b32_e32 v76, 0                                       // 000000002CF4: 7E980280
	v_mov_b32_e32 v124, 0                                      // 000000002CF8: 7EF80280
	v_mov_b32_e32 v77, 0                                       // 000000002CFC: 7E9A0280
	v_mov_b32_e32 v125, 0                                      // 000000002D00: 7EFA0280
	v_mov_b32_e32 v78, 0                                       // 000000002D04: 7E9C0280
	v_mov_b32_e32 v126, 0                                      // 000000002D08: 7EFC0280
	v_mov_b32_e32 v79, 0                                       // 000000002D0C: 7E9E0280
	v_mov_b32_e32 v127, 0                                      // 000000002D10: 7EFE0280
	v_mov_b32_e32 v80, 0                                       // 000000002D14: 7EA00280
	v_mov_b32_e32 v128, 0                                      // 000000002D18: 7F000280
	v_mov_b32_e32 v81, 0                                       // 000000002D1C: 7EA20280
	v_mov_b32_e32 v129, 0                                      // 000000002D20: 7F020280
	v_mov_b32_e32 v82, 0                                       // 000000002D24: 7EA40280
	v_mov_b32_e32 v130, 0                                      // 000000002D28: 7F040280
	v_mov_b32_e32 v83, 0                                       // 000000002D2C: 7EA60280
	v_mov_b32_e32 v131, 0                                      // 000000002D30: 7F060280
	v_mov_b32_e32 v84, 0                                       // 000000002D34: 7EA80280
	v_mov_b32_e32 v132, 0                                      // 000000002D38: 7F080280
	v_mov_b32_e32 v85, 0                                       // 000000002D3C: 7EAA0280
	v_mov_b32_e32 v133, 0                                      // 000000002D40: 7F0A0280
	v_mov_b32_e32 v86, 0                                       // 000000002D44: 7EAC0280
	v_mov_b32_e32 v134, 0                                      // 000000002D48: 7F0C0280
	v_mov_b32_e32 v87, 0                                       // 000000002D4C: 7EAE0280
	v_mov_b32_e32 v135, 0                                      // 000000002D50: 7F0E0280
	v_mov_b32_e32 v88, 0                                       // 000000002D54: 7EB00280
	v_mov_b32_e32 v136, 0                                      // 000000002D58: 7F100280
	v_mov_b32_e32 v89, 0                                       // 000000002D5C: 7EB20280
	v_mov_b32_e32 v137, 0                                      // 000000002D60: 7F120280
	v_mov_b32_e32 v90, 0                                       // 000000002D64: 7EB40280
	v_mov_b32_e32 v138, 0                                      // 000000002D68: 7F140280
	v_mov_b32_e32 v91, 0                                       // 000000002D6C: 7EB60280
	v_mov_b32_e32 v139, 0                                      // 000000002D70: 7F160280
	v_mov_b32_e32 v92, 0                                       // 000000002D74: 7EB80280
	v_mov_b32_e32 v140, 0                                      // 000000002D78: 7F180280
	v_mov_b32_e32 v93, 0                                       // 000000002D7C: 7EBA0280
	v_mov_b32_e32 v141, 0                                      // 000000002D80: 7F1A0280
	v_mov_b32_e32 v94, 0                                       // 000000002D84: 7EBC0280
	v_mov_b32_e32 v142, 0                                      // 000000002D88: 7F1C0280
	v_mov_b32_e32 v95, 0                                       // 000000002D8C: 7EBE0280
	v_mov_b32_e32 v143, 0                                      // 000000002D90: 7F1E0280
	v_mov_b32_e32 v96, 0                                       // 000000002D94: 7EC00280
	v_mov_b32_e32 v144, 0                                      // 000000002D98: 7F200280
	v_mov_b32_e32 v97, 0                                       // 000000002D9C: 7EC20280
	v_mov_b32_e32 v145, 0                                      // 000000002DA0: 7F220280
	v_mov_b32_e32 v98, 0                                       // 000000002DA4: 7EC40280
	v_mov_b32_e32 v146, 0                                      // 000000002DA8: 7F240280
	v_mov_b32_e32 v99, 0                                       // 000000002DAC: 7EC60280
	v_mov_b32_e32 v147, 0                                      // 000000002DB0: 7F260280
	v_mov_b32_e32 v100, 0                                      // 000000002DB4: 7EC80280
	v_mov_b32_e32 v148, 0                                      // 000000002DB8: 7F280280
	v_mov_b32_e32 v101, 0                                      // 000000002DBC: 7ECA0280
	v_mov_b32_e32 v149, 0                                      // 000000002DC0: 7F2A0280
	v_mov_b32_e32 v102, 0                                      // 000000002DC4: 7ECC0280
	v_mov_b32_e32 v150, 0                                      // 000000002DC8: 7F2C0280
	v_mov_b32_e32 v103, 0                                      // 000000002DCC: 7ECE0280
	v_mov_b32_e32 v151, 0                                      // 000000002DD0: 7F2E0280
	v_mov_b32_e32 v104, 0                                      // 000000002DD4: 7ED00280
	v_mov_b32_e32 v152, 0                                      // 000000002DD8: 7F300280
	v_mov_b32_e32 v105, 0                                      // 000000002DDC: 7ED20280
	v_mov_b32_e32 v153, 0                                      // 000000002DE0: 7F320280
	v_mov_b32_e32 v106, 0                                      // 000000002DE4: 7ED40280
	v_mov_b32_e32 v154, 0                                      // 000000002DE8: 7F340280
	v_mov_b32_e32 v107, 0                                      // 000000002DEC: 7ED60280
	v_mov_b32_e32 v155, 0                                      // 000000002DF0: 7F360280
	v_mov_b32_e32 v108, 0                                      // 000000002DF4: 7ED80280
	v_mov_b32_e32 v156, 0                                      // 000000002DF8: 7F380280
	v_mov_b32_e32 v109, 0                                      // 000000002DFC: 7EDA0280
	v_mov_b32_e32 v157, 0                                      // 000000002E00: 7F3A0280
	v_mov_b32_e32 v110, 0                                      // 000000002E04: 7EDC0280
	v_mov_b32_e32 v158, 0                                      // 000000002E08: 7F3C0280
	v_mov_b32_e32 v111, 0                                      // 000000002E0C: 7EDE0280
	v_mov_b32_e32 v159, 0                                      // 000000002E10: 7F3E0280
	v_mov_b32_e32 v112, 0                                      // 000000002E14: 7EE00280
	v_mov_b32_e32 v160, 0                                      // 000000002E18: 7F400280
	v_mov_b32_e32 v113, 0                                      // 000000002E1C: 7EE20280
	v_mov_b32_e32 v161, 0                                      // 000000002E20: 7F420280
	v_mov_b32_e32 v114, 0                                      // 000000002E24: 7EE40280
	v_mov_b32_e32 v162, 0                                      // 000000002E28: 7F440280
	v_mov_b32_e32 v115, 0                                      // 000000002E2C: 7EE60280
	v_mov_b32_e32 v163, 0                                      // 000000002E30: 7F460280
	s_mul_i32 s60, s2, 0x100                                   // 000000002E34: 923CFF02 00000100
	s_cmp_eq_u32 s88, 0                                        // 000000002E3C: BF068058
	s_cselect_b32 s61, 1, 2                                    // 000000002E40: 853D8281
	s_mul_i32 s60, s60, s61                                    // 000000002E44: 923C3D3C
	s_mov_b32 s90, s8                                          // 000000002E48: BEDA0008
	s_mov_b32 s91, s9                                          // 000000002E4C: BEDB0009
	s_add_u32 s8, s60, s8                                      // 000000002E50: 8008083C
	s_addc_u32 s9, 0, s9                                       // 000000002E54: 82090980
	v_lshrrev_b32_e32 v4, 4, v0                                // 000000002E58: 20080084
	v_mul_lo_u32 v20, 34, v4                                   // 000000002E5C: D2850014 000208A2
	v_and_b32_e32 v4, 15, v0                                   // 000000002E64: 2608008F
	v_mul_lo_u32 v5, 2, v4                                     // 000000002E68: D2850005 00020882
	v_add_u32_e32 v20, v5, v20                                 // 000000002E70: 68282905
	s_mul_i32 s60, s7, 0x88                                    // 000000002E74: 923CFF07 00000088
	v_add_u32_e32 v20, s60, v20                                // 000000002E7C: 6828283C
	v_lshlrev_b32_e32 v20, 2, v20                              // 000000002E80: 24282882
	v_and_b32_e32 v4, 31, v0                                   // 000000002E84: 2608009F
	v_lshrrev_b32_e32 v4, 1, v4                                // 000000002E88: 20080881
	v_mul_lo_u32 v21, 34, v4                                   // 000000002E8C: D2850015 000208A2
	v_lshrrev_b32_e32 v4, 5, v0                                // 000000002E94: 20080085
	v_mul_lo_u32 v4, 8, v4                                     // 000000002E98: D2850004 00020888
	v_add_u32_e32 v21, v21, v4                                 // 000000002EA0: 682A0915
	v_and_b32_e32 v5, 1, v0                                    // 000000002EA4: 260A0081
	v_add_u32_e32 v21, v5, v21                                 // 000000002EA8: 682A2B05
	s_mul_i32 s60, s7, 2                                       // 000000002EAC: 923C8207
	v_add_u32_e32 v21, s60, v21                                // 000000002EB0: 682A2A3C
	v_lshlrev_b32_e32 v21, 2, v21                              // 000000002EB4: 242A2A82
	s_mul_i32 s60, s7, 0xc20                                   // 000000002EB8: 923CFF07 00000C20
	s_add_u32 s48, 0, s60                                      // 000000002EC0: 80303C80
	s_add_u32 s49, 0x3080, s48                                 // 000000002EC4: 803130FF 00003080
	s_add_u32 s50, 0x3080, s49                                 // 000000002ECC: 803231FF 00003080
	v_lshrrev_b32_e32 v4, 4, v0                                // 000000002ED4: 20080084
	v_lshlrev_b32_e32 v5, 2, v4                                // 000000002ED8: 240A0882
	v_and_b32_e32 v4, 15, v0                                   // 000000002EDC: 2608008F
	v_lshrrev_b32_e32 v6, 2, v4                                // 000000002EE0: 200C0882
	v_lshlrev_b32_e32 v6, 5, v6                                // 000000002EE4: 240C0C85
	v_add_u32_e32 v5, v6, v5                                   // 000000002EE8: 680A0B06
	v_and_b32_e32 v4, 3, v0                                    // 000000002EEC: 26080083
	v_mul_u32_u24_e32 v6, 0x308, v4                            // 000000002EF0: 100C08FF 00000308
	v_add_u32_e32 v5, v6, v5                                   // 000000002EF8: 680A0B06
	v_lshlrev_b32_e32 v2, 2, v5                                // 000000002EFC: 24040A82
	s_waitcnt lgkmcnt(0)                                       // 000000002F00: BF8CC07F
	s_mul_i32 s60, s2, 0x80                                    // 000000002F04: 923CFF02 00000080
	s_mul_i32 s60, s60, s69                                    // 000000002F0C: 923C453C
	s_mul_i32 s61, s5, s72                                     // 000000002F10: 923D4805
	s_add_u32 s60, s61, s60                                    // 000000002F14: 803C3C3D
	s_add_u32 s24, s60, s24                                    // 000000002F18: 8018183C
	s_addc_u32 s25, 0, s25                                     // 000000002F1C: 82191980
	s_lshr_b32 s60, s64, s88                                   // 000000002F20: 8F3C5840
	s_mul_i32 s60, s4, s60                                     // 000000002F24: 923C3C04
	s_lshr_b32 s60, s60, 7                                     // 000000002F28: 8F3C873C
	s_mul_i32 s60, s60, 0x800                                  // 000000002F2C: 923CFF3C 00000800
	s_add_u32 s24, s60, s24                                    // 000000002F34: 8018183C
	s_addc_u32 s25, 0, s25                                     // 000000002F38: 82191980
	s_lshr_b32 s60, s69, s88                                   // 000000002F3C: 8F3C5845
	s_mul_i32 s60, s4, s60                                     // 000000002F40: 923C3C04
	s_add_u32 s20, s60, s20                                    // 000000002F44: 8014143C
	s_addc_u32 s21, 0, s21                                     // 000000002F48: 82151580
	s_mul_i32 s60, s7, 16                                      // 000000002F4C: 923C9007
	s_mul_i32 s60, s60, s69                                    // 000000002F50: 923C453C
	v_lshlrev_b32_e32 v66, 4, v0                               // 000000002F54: 24840084
	v_add_u32_e32 v66, s60, v66                                // 000000002F58: 6884843C
	s_mul_i32 s60, 64, s69                                     // 000000002F5C: 923C45C0
	v_add_u32_e32 v67, s60, v66                                // 000000002F60: 6886843C
	s_mov_b32 s84, s24                                         // 000000002F64: BED40018
	s_mov_b32 s85, s25                                         // 000000002F68: BED50019
	s_mov_b32 s86, s26                                         // 000000002F6C: BED6001A
	s_mov_b32 s87, s27                                         // 000000002F70: BED7001B
	s_mul_i32 s60, s69, s65                                    // 000000002F74: 923C4145
	s_add_u32 s84, s60, s84                                    // 000000002F78: 8054543C
	s_addc_u32 s85, 0, s85                                     // 000000002F7C: 82555580
	v_lshrrev_b32_e32 v4, 4, v0                                // 000000002F80: 20080084
	v_lshlrev_b32_e32 v5, 2, v4                                // 000000002F84: 240A0882
	v_and_b32_e32 v4, 15, v0                                   // 000000002F88: 2608008F
	v_lshrrev_b32_e32 v6, 2, v4                                // 000000002F8C: 200C0882
	v_lshlrev_b32_e32 v6, 6, v6                                // 000000002F90: 240C0C86
	v_add_u32_e32 v5, v6, v5                                   // 000000002F94: 680A0B06
	v_and_b32_e32 v4, 3, v0                                    // 000000002F98: 26080083
	v_add_u32_e32 v5, v4, v5                                   // 000000002F9C: 680A0B04
	v_lshlrev_b32_e32 v22, 2, v5                               // 000000002FA0: 242C0A82
	s_mul_i32 s60, s7, 16                                      // 000000002FA4: 923C9007
	s_mul_i32 s60, s60, 4                                      // 000000002FA8: 923C843C
	v_add_u32_e32 v22, s60, v22                                // 000000002FAC: 682C2C3C
	s_mul_i32 s60, s2, 0x80                                    // 000000002FB0: 923CFF02 00000080
	s_mul_i32 s60, s60, 4                                      // 000000002FB8: 923C843C
	s_mul_i32 s61, s5, s74                                     // 000000002FBC: 923D4A05
	s_add_u32 s61, s61, s60                                    // 000000002FC0: 803D3C3D
	s_add_u32 s32, s61, s32                                    // 000000002FC4: 8020203D
	s_addc_u32 s33, 0, s33                                     // 000000002FC8: 82212180
	s_mov_b32 s57, 0x80                                        // 000000002FCC: BEB900FF 00000080
	s_mov_b32 s58, 0x800                                       // 000000002FD4: BEBA00FF 00000800
	s_mov_b32 s83, s58                                         // 000000002FDC: BED3003A
	s_mov_b32 s52, 0x7060302                                   // 000000002FE0: BEB400FF 07060302
	s_mov_b32 s53, 0x400                                       // 000000002FE8: BEB500FF 00000400
	s_mov_b32 s54, 0x40100                                     // 000000002FF0: BEB600FF 00040100
	s_mov_b32 s55, 0x4020100                                   // 000000002FF8: BEB700FF 04020100
	s_mov_b32 s6, 0x3fb8aa3b                                   // 000000003000: BE8600FF 3FB8AA3B
	s_mov_b32 s78, 0xbd92220c                                  // 000000003008: BECE00FF BD92220C
	s_mov_b32 s79, 0xbd92220c                                  // 000000003010: BECF00FF BD92220C
	s_mov_b32 m0, s48                                          // 000000003018: BEFC0030
	v_mov_b32_e32 v1, 0xbfcc4231                               // 00000000301C: 7E0202FF BFCC4231
	v_mov_b32_e32 v17, 0xffff0000                              // 000000003024: 7E2202FF FFFF0000
	v_mov_b32_e32 v18, 0x7fff0000                              // 00000000302C: 7E2402FF 7FFF0000
	v_mov_b32_e32 v19, 0x7fff                                  // 000000003034: 7E2602FF 00007FFF
	s_waitcnt vmcnt(0) expcnt(0) lgkmcnt(0)                    // 00000000303C: BF8C0000
	s_mul_i32 s60, s3, 0x60                                    // 000000003040: 923CFF03 00000060
	s_mul_i32 s60, 4, s60                                      // 000000003048: 923C3C84
	s_add_u32 s40, s60, s40                                    // 00000000304C: 8028283C
	s_addc_u32 s41, 0, s41                                     // 000000003050: 82292980
	v_and_b32_e32 v4, 15, v0                                   // 000000003054: 2608008F
	v_lshlrev_b32_e32 v4, 2, v4                                // 000000003058: 24080882
	buffer_load_dword v164, v4, s[40:43], 0 offen              // 00000000305C: E0501000 800AA404
	buffer_load_dword v165, v4, s[40:43], 0 offen offset:64    // 000000003064: E0501040 800AA504
	buffer_load_dword v166, v4, s[40:43], 0 offen offset:128   // 00000000306C: E0501080 800AA604
	buffer_load_dword v167, v4, s[40:43], 0 offen offset:192   // 000000003074: E05010C0 800AA704
	buffer_load_dword v168, v4, s[40:43], 0 offen offset:256   // 00000000307C: E0501100 800AA804
	buffer_load_dword v169, v4, s[40:43], 0 offen offset:320   // 000000003084: E0501140 800AA904
	v_lshrrev_b32_e32 v4, 5, v0                                // 00000000308C: 20080085
	v_xor_b32_e32 v5, 1, v4                                    // 000000003090: 2A0A0881
	v_readlane_b32 s82, v3, 0                                  // 000000003094: D2890052 00010103
	s_and_b32 s82, s82, 0xffffff                               // 00000000309C: 8652FF52 00FFFFFF
	v_mul_lo_u32 v6, v5, s82                                   // 0000000030A4: D2850006 0000A505
	v_readlane_b32 s82, v3, 1                                  // 0000000030AC: D2890052 00010303
	s_and_b32 s82, s82, 0xffffff                               // 0000000030B4: 8652FF52 00FFFFFF
	v_mul_lo_u32 v7, v4, s82                                   // 0000000030BC: D2850007 0000A504
	v_add_u32_e32 v54, v6, v7                                  // 0000000030C4: 686C0F06
	v_mul_lo_u32 v54, v54, s68                                 // 0000000030C8: D2850036 00008936
	v_readlane_b32 s82, v3, 2                                  // 0000000030D0: D2890052 00010503
	s_and_b32 s82, s82, 0xffffff                               // 0000000030D8: 8652FF52 00FFFFFF
	v_mul_lo_u32 v6, v5, s82                                   // 0000000030E0: D2850006 0000A505
	v_readlane_b32 s82, v3, 3                                  // 0000000030E8: D2890052 00010703
	s_and_b32 s82, s82, 0xffffff                               // 0000000030F0: 8652FF52 00FFFFFF
	v_mul_lo_u32 v7, v4, s82                                   // 0000000030F8: D2850007 0000A504
	v_add_u32_e32 v55, v6, v7                                  // 000000003100: 686E0F06
	v_mul_lo_u32 v55, v55, s68                                 // 000000003104: D2850037 00008937
	v_readlane_b32 s82, v3, 4                                  // 00000000310C: D2890052 00010903
	s_and_b32 s82, s82, 0xffffff                               // 000000003114: 8652FF52 00FFFFFF
	v_mul_lo_u32 v6, v5, s82                                   // 00000000311C: D2850006 0000A505
	v_readlane_b32 s82, v3, 5                                  // 000000003124: D2890052 00010B03
	s_and_b32 s82, s82, 0xffffff                               // 00000000312C: 8652FF52 00FFFFFF
	v_mul_lo_u32 v7, v4, s82                                   // 000000003134: D2850007 0000A504
	v_add_u32_e32 v56, v6, v7                                  // 00000000313C: 68700F06
	v_mul_lo_u32 v56, v56, s68                                 // 000000003140: D2850038 00008938
	v_readlane_b32 s82, v3, 6                                  // 000000003148: D2890052 00010D03
	s_and_b32 s82, s82, 0xffffff                               // 000000003150: 8652FF52 00FFFFFF
	v_mul_lo_u32 v6, v5, s82                                   // 000000003158: D2850006 0000A505
	v_readlane_b32 s82, v3, 7                                  // 000000003160: D2890052 00010F03
	s_and_b32 s82, s82, 0xffffff                               // 000000003168: 8652FF52 00FFFFFF
	v_mul_lo_u32 v7, v4, s82                                   // 000000003170: D2850007 0000A504
	v_add_u32_e32 v57, v6, v7                                  // 000000003178: 68720F06
	v_mul_lo_u32 v57, v57, s68                                 // 00000000317C: D2850039 00008939
	v_readlane_b32 s82, v3, 8                                  // 000000003184: D2890052 00011103
	s_and_b32 s82, s82, 0xffffff                               // 00000000318C: 8652FF52 00FFFFFF
	v_mul_lo_u32 v6, v5, s82                                   // 000000003194: D2850006 0000A505
	v_readlane_b32 s82, v3, 9                                  // 00000000319C: D2890052 00011303
	s_and_b32 s82, s82, 0xffffff                               // 0000000031A4: 8652FF52 00FFFFFF
	v_mul_lo_u32 v7, v4, s82                                   // 0000000031AC: D2850007 0000A504
	v_add_u32_e32 v58, v6, v7                                  // 0000000031B4: 68740F06
	v_mul_lo_u32 v58, v58, s68                                 // 0000000031B8: D285003A 0000893A
	v_readlane_b32 s82, v3, 10                                 // 0000000031C0: D2890052 00011503
	s_and_b32 s82, s82, 0xffffff                               // 0000000031C8: 8652FF52 00FFFFFF
	v_mul_lo_u32 v6, v5, s82                                   // 0000000031D0: D2850006 0000A505
	v_readlane_b32 s82, v3, 11                                 // 0000000031D8: D2890052 00011703
	s_and_b32 s82, s82, 0xffffff                               // 0000000031E0: 8652FF52 00FFFFFF
	v_mul_lo_u32 v7, v4, s82                                   // 0000000031E8: D2850007 0000A504
	v_add_u32_e32 v59, v6, v7                                  // 0000000031F0: 68760F06
	v_mul_lo_u32 v59, v59, s68                                 // 0000000031F4: D285003B 0000893B
	v_readlane_b32 s82, v3, 12                                 // 0000000031FC: D2890052 00011903
	s_and_b32 s82, s82, 0xffffff                               // 000000003204: 8652FF52 00FFFFFF
	v_mul_lo_u32 v6, v5, s82                                   // 00000000320C: D2850006 0000A505
	v_readlane_b32 s82, v3, 13                                 // 000000003214: D2890052 00011B03
	s_and_b32 s82, s82, 0xffffff                               // 00000000321C: 8652FF52 00FFFFFF
	v_mul_lo_u32 v7, v4, s82                                   // 000000003224: D2850007 0000A504
	v_add_u32_e32 v60, v6, v7                                  // 00000000322C: 68780F06
	v_mul_lo_u32 v60, v60, s68                                 // 000000003230: D285003C 0000893C
	v_readlane_b32 s82, v3, 14                                 // 000000003238: D2890052 00011D03
	s_and_b32 s82, s82, 0xffffff                               // 000000003240: 8652FF52 00FFFFFF
	v_mul_lo_u32 v6, v5, s82                                   // 000000003248: D2850006 0000A505
	v_readlane_b32 s82, v3, 15                                 // 000000003250: D2890052 00011F03
	s_and_b32 s82, s82, 0xffffff                               // 000000003258: 8652FF52 00FFFFFF
	v_mul_lo_u32 v7, v4, s82                                   // 000000003260: D2850007 0000A504
	v_add_u32_e32 v61, v6, v7                                  // 000000003268: 687A0F06
	v_mul_lo_u32 v61, v61, s68                                 // 00000000326C: D285003D 0000893D
	v_readlane_b32 s82, v3, 16                                 // 000000003274: D2890052 00012103
	s_and_b32 s82, s82, 0xffffff                               // 00000000327C: 8652FF52 00FFFFFF
	v_mul_lo_u32 v6, v5, s82                                   // 000000003284: D2850006 0000A505
	v_readlane_b32 s82, v3, 17                                 // 00000000328C: D2890052 00012303
	s_and_b32 s82, s82, 0xffffff                               // 000000003294: 8652FF52 00FFFFFF
	v_mul_lo_u32 v7, v4, s82                                   // 00000000329C: D2850007 0000A504
	v_add_u32_e32 v62, v6, v7                                  // 0000000032A4: 687C0F06
	v_mul_lo_u32 v62, v62, s68                                 // 0000000032A8: D285003E 0000893E
	v_readlane_b32 s82, v3, 18                                 // 0000000032B0: D2890052 00012503
	s_and_b32 s82, s82, 0xffffff                               // 0000000032B8: 8652FF52 00FFFFFF
	v_mul_lo_u32 v6, v5, s82                                   // 0000000032C0: D2850006 0000A505
	v_readlane_b32 s82, v3, 19                                 // 0000000032C8: D2890052 00012703
	s_and_b32 s82, s82, 0xffffff                               // 0000000032D0: 8652FF52 00FFFFFF
	v_mul_lo_u32 v7, v4, s82                                   // 0000000032D8: D2850007 0000A504
	v_add_u32_e32 v63, v6, v7                                  // 0000000032E0: 687E0F06
	v_mul_lo_u32 v63, v63, s68                                 // 0000000032E4: D285003F 0000893F
	v_readlane_b32 s82, v3, 20                                 // 0000000032EC: D2890052 00012903
	s_and_b32 s82, s82, 0xffffff                               // 0000000032F4: 8652FF52 00FFFFFF
	v_mul_lo_u32 v6, v5, s82                                   // 0000000032FC: D2850006 0000A505
	v_readlane_b32 s82, v3, 21                                 // 000000003304: D2890052 00012B03
	s_and_b32 s82, s82, 0xffffff                               // 00000000330C: 8652FF52 00FFFFFF
	v_mul_lo_u32 v7, v4, s82                                   // 000000003314: D2850007 0000A504
	v_add_u32_e32 v64, v6, v7                                  // 00000000331C: 68800F06
	v_mul_lo_u32 v64, v64, s68                                 // 000000003320: D2850040 00008940
	v_readlane_b32 s82, v3, 22                                 // 000000003328: D2890052 00012D03
	s_and_b32 s82, s82, 0xffffff                               // 000000003330: 8652FF52 00FFFFFF
	v_mul_lo_u32 v6, v5, s82                                   // 000000003338: D2850006 0000A505
	v_readlane_b32 s82, v3, 23                                 // 000000003340: D2890052 00012F03
	s_and_b32 s82, s82, 0xffffff                               // 000000003348: 8652FF52 00FFFFFF
	v_mul_lo_u32 v7, v4, s82                                   // 000000003350: D2850007 0000A504
	v_add_u32_e32 v65, v6, v7                                  // 000000003358: 68820F06
	v_mul_lo_u32 v65, v65, s68                                 // 00000000335C: D2850041 00008941
	v_and_b32_e32 v4, 31, v0                                   // 000000003364: 2608009F
	v_lshlrev_b32_e32 v4, 2, v4                                // 000000003368: 24080882
	v_add_u32_e32 v54, v54, v4                                 // 00000000336C: 686C0936
	v_add_u32_e32 v55, v55, v4                                 // 000000003370: 686E0937
	v_add_u32_e32 v56, v56, v4                                 // 000000003374: 68700938
	v_add_u32_e32 v57, v57, v4                                 // 000000003378: 68720939
	v_add_u32_e32 v58, v58, v4                                 // 00000000337C: 6874093A
	v_add_u32_e32 v59, v59, v4                                 // 000000003380: 6876093B
	v_add_u32_e32 v60, v60, v4                                 // 000000003384: 6878093C
	v_add_u32_e32 v61, v61, v4                                 // 000000003388: 687A093D
	v_add_u32_e32 v62, v62, v4                                 // 00000000338C: 687C093E
	v_add_u32_e32 v63, v63, v4                                 // 000000003390: 687E093F
	v_add_u32_e32 v64, v64, v4                                 // 000000003394: 68800940
	v_add_u32_e32 v65, v65, v4                                 // 000000003398: 68820941
	v_and_b32_e32 v30, 0xffffff, v30                           // 00000000339C: 263C3CFF 00FFFFFF
	v_lshlrev_b32_e32 v30, 2, v30                              // 0000000033A4: 243C3C82
	v_and_b32_e32 v31, 0xffffff, v31                           // 0000000033A8: 263E3EFF 00FFFFFF
	v_lshlrev_b32_e32 v31, 2, v31                              // 0000000033B0: 243E3E82
	v_and_b32_e32 v32, 0xffffff, v32                           // 0000000033B4: 264040FF 00FFFFFF
	v_lshlrev_b32_e32 v32, 2, v32                              // 0000000033BC: 24404082
	v_and_b32_e32 v33, 0xffffff, v33                           // 0000000033C0: 264242FF 00FFFFFF
	v_lshlrev_b32_e32 v33, 2, v33                              // 0000000033C8: 24424282
	v_and_b32_e32 v34, 0xffffff, v34                           // 0000000033CC: 264444FF 00FFFFFF
	v_lshlrev_b32_e32 v34, 2, v34                              // 0000000033D4: 24444482
	v_and_b32_e32 v35, 0xffffff, v35                           // 0000000033D8: 264646FF 00FFFFFF
	v_lshlrev_b32_e32 v35, 2, v35                              // 0000000033E0: 24464682
	s_lshl_b32 s3, s66, 2                                      // 0000000033E4: 8E038242
	buffer_load_dword v36, v30, s[28:31], 0 offen              // 0000000033E8: E0501000 8007241E
	buffer_load_dword v37, v31, s[28:31], 0 offen              // 0000000033F0: E0501000 8007251F
	buffer_load_dword v38, v32, s[28:31], 0 offen              // 0000000033F8: E0501000 80072620
	buffer_load_dword v39, v33, s[28:31], 0 offen              // 000000003400: E0501000 80072721
	buffer_load_dword v40, v34, s[28:31], 0 offen              // 000000003408: E0501000 80072822
	;; [unrolled: 1-line block ×4, first 2 shown]
	s_mul_i32 s60, 4, s65                                      // 000000003420: 923C4184
	s_add_u32 s32, s60, s32                                    // 000000003424: 8020203C
	s_addc_u32 s33, 0, s33                                     // 000000003428: 82212180
	buffer_load_dword v27, v22, s[32:35], 0 offen              // 00000000342C: E0501000 80081B16
	buffer_load_dword v54, s[20:23], 0 offen lds               // 000000003434: E0511000 80050036
	s_add_u32 m0, 0x100, s48                                   // 00000000343C: 807C30FF 00000100
	buffer_load_dword v55, s[20:23], 0 offen lds               // 000000003444: E0511000 80050037
	s_add_u32 m0, 0x200, s48                                   // 00000000344C: 807C30FF 00000200
	buffer_load_dword v56, s[20:23], 0 offen lds               // 000000003454: E0511000 80050038
	s_add_u32 m0, 0x300, s48                                   // 00000000345C: 807C30FF 00000300
	buffer_load_dword v57, s[20:23], 0 offen lds               // 000000003464: E0511000 80050039
	s_add_u32 m0, 0x400, s48                                   // 00000000346C: 807C30FF 00000400
	buffer_load_dword v58, s[20:23], 0 offen lds               // 000000003474: E0511000 8005003A
	s_add_u32 m0, 0x500, s48                                   // 00000000347C: 807C30FF 00000500
	buffer_load_dword v59, s[20:23], 0 offen lds               // 000000003484: E0511000 8005003B
	s_add_u32 m0, 0x600, s48                                   // 00000000348C: 807C30FF 00000600
	buffer_load_dword v60, s[20:23], 0 offen lds               // 000000003494: E0511000 8005003C
	s_add_u32 m0, 0x700, s48                                   // 00000000349C: 807C30FF 00000700
	buffer_load_dword v61, s[20:23], 0 offen lds               // 0000000034A4: E0511000 8005003D
	s_add_u32 m0, 0x800, s48                                   // 0000000034AC: 807C30FF 00000800
	buffer_load_dword v62, s[20:23], 0 offen lds               // 0000000034B4: E0511000 8005003E
	s_add_u32 m0, 0x900, s48                                   // 0000000034BC: 807C30FF 00000900
	buffer_load_dword v63, s[20:23], 0 offen lds               // 0000000034C4: E0511000 8005003F
	s_add_u32 m0, 0xa00, s48                                   // 0000000034CC: 807C30FF 00000A00
	buffer_load_dword v64, s[20:23], 0 offen lds               // 0000000034D4: E0511000 80050040
	s_add_u32 m0, 0xb00, s48                                   // 0000000034DC: 807C30FF 00000B00
	buffer_load_dword v65, s[20:23], 0 offen lds               // 0000000034E4: E0511000 80050041
	s_add_u32 m0, 0, s49                                       // 0000000034EC: 807C3180
	s_add_u32 s20, s57, s20                                    // 0000000034F0: 80141439
	s_addc_u32 s21, 0, s21                                     // 0000000034F4: 82151580
	buffer_load_dwordx4 a[96:99], v66, s[24:27], 0 offen       // 0000000034F8: E05C1000 80866042
	buffer_load_dwordx4 a[100:103], v66, s[24:27], 0 offen offset:1024// 000000003500: E05C1400 80866442
	buffer_load_dwordx4 a[104:107], v67, s[24:27], 0 offen     // 000000003508: E05C1000 80866843
	buffer_load_dwordx4 a[108:111], v67, s[24:27], 0 offen offset:1024// 000000003510: E05C1400 80866C43
	s_add_u32 s24, s58, s24                                    // 000000003518: 8018183A
	s_addc_u32 s25, 0, s25                                     // 00000000351C: 82191980
	buffer_load_dword v54, s[20:23], 0 offen lds               // 000000003520: E0511000 80050036
	s_add_u32 m0, 0x100, s49                                   // 000000003528: 807C31FF 00000100
	buffer_load_dword v55, s[20:23], 0 offen lds               // 000000003530: E0511000 80050037
	s_add_u32 m0, 0x200, s49                                   // 000000003538: 807C31FF 00000200
	;; [unrolled: 2-line block ×4, first 2 shown]
	buffer_load_dword v58, s[20:23], 0 offen lds               // 000000003560: E0511000 8005003A
	s_add_u32 m0, 0x500, s49                                   // 000000003568: 807C31FF 00000500
	buffer_load_dword v59, s[20:23], 0 offen lds               // 000000003570: E0511000 8005003B
	s_add_u32 m0, 0x600, s49                                   // 000000003578: 807C31FF 00000600
	buffer_load_dword v60, s[20:23], 0 offen lds               // 000000003580: E0511000 8005003C
	s_add_u32 m0, 0x700, s49                                   // 000000003588: 807C31FF 00000700
	buffer_load_dword v61, s[20:23], 0 offen lds               // 000000003590: E0511000 8005003D
	s_add_u32 m0, 0x800, s49                                   // 000000003598: 807C31FF 00000800
	buffer_load_dword v62, s[20:23], 0 offen lds               // 0000000035A0: E0511000 8005003E
	s_add_u32 m0, 0x900, s49                                   // 0000000035A8: 807C31FF 00000900
	buffer_load_dword v63, s[20:23], 0 offen lds               // 0000000035B0: E0511000 8005003F
	s_add_u32 m0, 0xa00, s49                                   // 0000000035B8: 807C31FF 00000A00
	buffer_load_dword v64, s[20:23], 0 offen lds               // 0000000035C0: E0511000 80050040
	s_add_u32 m0, 0xb00, s49                                   // 0000000035C8: 807C31FF 00000B00
	buffer_load_dword v65, s[20:23], 0 offen lds               // 0000000035D0: E0511000 80050041
	s_add_u32 m0, 0, s50                                       // 0000000035D8: 807C3280
	s_add_u32 s20, s57, s20                                    // 0000000035DC: 80141439
	s_addc_u32 s21, 0, s21                                     // 0000000035E0: 82151580
	buffer_load_dwordx4 a[112:115], v66, s[84:87], 0 offen     // 0000000035E4: E05C1000 80957042
	buffer_load_dwordx4 a[116:119], v66, s[84:87], 0 offen offset:1024// 0000000035EC: E05C1400 80957442
	buffer_load_dwordx4 a[120:123], v67, s[84:87], 0 offen     // 0000000035F4: E05C1000 80957843
	buffer_load_dwordx4 a[124:127], v67, s[84:87], 0 offen offset:1024// 0000000035FC: E05C1400 80957C43
	s_add_u32 s84, s83, s84                                    // 000000003604: 80545453
	s_addc_u32 s85, 0, s85                                     // 000000003608: 82555580
	s_waitcnt vmcnt(20)                                        // 00000000360C: BF8C4F74
	s_barrier                                                  // 000000003610: BF8A0000
	ds_read_b128 a[0:3], v2                                    // 000000003614: DBFE0000 00000002
	ds_read_b128 a[4:7], v2 offset:64                          // 00000000361C: DBFE0040 04000002
	ds_read_b128 a[8:11], v2 offset:512                        // 000000003624: DBFE0200 08000002
	ds_read_b128 a[12:15], v2 offset:576                       // 00000000362C: DBFE0240 0C000002
	ds_read_b128 a[16:19], v2 offset:1024                      // 000000003634: DBFE0400 10000002
	ds_read_b128 a[20:23], v2 offset:1088                      // 00000000363C: DBFE0440 14000002
	ds_read_b128 a[24:27], v2 offset:1536                      // 000000003644: DBFE0600 18000002
	ds_read_b128 a[28:31], v2 offset:1600                      // 00000000364C: DBFE0640 1C000002
	ds_read_b128 a[32:35], v2 offset:2048                      // 000000003654: DBFE0800 20000002
	ds_read_b128 a[36:39], v2 offset:2112                      // 00000000365C: DBFE0840 24000002
	ds_read_b128 a[40:43], v2 offset:2560                      // 000000003664: DBFE0A00 28000002
	ds_read_b128 a[44:47], v2 offset:2624                      // 00000000366C: DBFE0A40 2C000002
	s_cmp_lt_i32 s7, 2                                         // 000000003674: BF048207
	s_cbranch_scc0 label_1894                                  // 000000003678: BF841572

000000000000367c <label_031F>:
	s_waitcnt vmcnt(16) lgkmcnt(0)                             // 00000000367C: BF8C4070
	v_mfma_f32_16x16x32_fp8_fp8 v[68:71], a[96:97], a[0:1], v[68:71]// 000000003680: D3F30044 1D120160
	v_mfma_f32_16x16x32_fp8_fp8 v[68:71], a[98:99], a[2:3], v[68:71]// 000000003688: D3F30044 1D120562
	buffer_load_dwordx4 a[128:131], v66, s[24:27], 0 offen     // 000000003690: E05C1000 80868042
	v_mfma_f32_16x16x32_fp8_fp8 v[68:71], a[100:101], a[4:5], v[68:71]// 000000003698: D3F30044 1D120964
	v_mfma_f32_16x16x32_fp8_fp8 v[68:71], a[102:103], a[6:7], v[68:71]// 0000000036A0: D3F30044 1D120D66
	v_mfma_f32_16x16x32_fp8_fp8 v[92:95], a[104:105], a[0:1], v[92:95]// 0000000036A8: D3F3005C 1D720168
	v_mfma_f32_16x16x32_fp8_fp8 v[92:95], a[106:107], a[2:3], v[92:95]// 0000000036B0: D3F3005C 1D72056A
	buffer_load_dwordx4 a[132:135], v66, s[24:27], 0 offen offset:1024// 0000000036B8: E05C1400 80868442
	v_mfma_f32_16x16x32_fp8_fp8 v[92:95], a[108:109], a[4:5], v[92:95]// 0000000036C0: D3F3005C 1D72096C
	v_mfma_f32_16x16x32_fp8_fp8 v[92:95], a[110:111], a[6:7], v[92:95]// 0000000036C8: D3F3005C 1D720D6E
	v_mfma_f32_16x16x32_fp8_fp8 v[72:75], a[96:97], a[8:9], v[72:75]// 0000000036D0: D3F30048 1D221160
	v_mfma_f32_16x16x32_fp8_fp8 v[72:75], a[98:99], a[10:11], v[72:75]// 0000000036D8: D3F30048 1D221562
	buffer_load_dwordx4 a[136:139], v67, s[24:27], 0 offen     // 0000000036E0: E05C1000 80868843
	v_mfma_f32_16x16x32_fp8_fp8 v[72:75], a[100:101], a[12:13], v[72:75]// 0000000036E8: D3F30048 1D221964
	v_mfma_f32_16x16x32_fp8_fp8 v[72:75], a[102:103], a[14:15], v[72:75]// 0000000036F0: D3F30048 1D221D66
	v_mfma_f32_16x16x32_fp8_fp8 v[96:99], a[104:105], a[8:9], v[96:99]// 0000000036F8: D3F30060 1D821168
	v_mfma_f32_16x16x32_fp8_fp8 v[96:99], a[106:107], a[10:11], v[96:99]// 000000003700: D3F30060 1D82156A
	buffer_load_dwordx4 a[140:143], v67, s[24:27], 0 offen offset:1024// 000000003708: E05C1400 80868C43
	buffer_load_dword v54, s[20:23], 0 offen lds               // 000000003710: E0511000 80050036
	s_add_u32 m0, 0x100, s50                                   // 000000003718: 807C32FF 00000100
	v_mfma_f32_16x16x32_fp8_fp8 v[96:99], a[108:109], a[12:13], v[96:99]// 000000003720: D3F30060 1D82196C
	v_mfma_f32_16x16x32_fp8_fp8 v[96:99], a[110:111], a[14:15], v[96:99]// 000000003728: D3F30060 1D821D6E
	buffer_load_dword v55, s[20:23], 0 offen lds               // 000000003730: E0511000 80050037
	s_add_u32 m0, 0x200, s50                                   // 000000003738: 807C32FF 00000200
	v_mfma_f32_16x16x32_fp8_fp8 v[76:79], a[96:97], a[16:17], v[76:79]// 000000003740: D3F3004C 1D322160
	v_mfma_f32_16x16x32_fp8_fp8 v[76:79], a[98:99], a[18:19], v[76:79]// 000000003748: D3F3004C 1D322562
	buffer_load_dword v56, s[20:23], 0 offen lds               // 000000003750: E0511000 80050038
	s_add_u32 m0, 0x300, s50                                   // 000000003758: 807C32FF 00000300
	v_mfma_f32_16x16x32_fp8_fp8 v[76:79], a[100:101], a[20:21], v[76:79]// 000000003760: D3F3004C 1D322964
	v_mfma_f32_16x16x32_fp8_fp8 v[76:79], a[102:103], a[22:23], v[76:79]// 000000003768: D3F3004C 1D322D66
	buffer_load_dword v57, s[20:23], 0 offen lds               // 000000003770: E0511000 80050039
	s_add_u32 m0, 0x400, s50                                   // 000000003778: 807C32FF 00000400
	v_mfma_f32_16x16x32_fp8_fp8 v[100:103], a[104:105], a[16:17], v[100:103]// 000000003780: D3F30064 1D922168
	v_mfma_f32_16x16x32_fp8_fp8 v[100:103], a[106:107], a[18:19], v[100:103]// 000000003788: D3F30064 1D92256A
	buffer_load_dword v58, s[20:23], 0 offen lds               // 000000003790: E0511000 8005003A
	s_add_u32 m0, 0x500, s50                                   // 000000003798: 807C32FF 00000500
	v_mfma_f32_16x16x32_fp8_fp8 v[100:103], a[108:109], a[20:21], v[100:103]// 0000000037A0: D3F30064 1D92296C
	v_mfma_f32_16x16x32_fp8_fp8 v[100:103], a[110:111], a[22:23], v[100:103]// 0000000037A8: D3F30064 1D922D6E
	buffer_load_dword v59, s[20:23], 0 offen lds               // 0000000037B0: E0511000 8005003B
	s_add_u32 m0, 0x600, s50                                   // 0000000037B8: 807C32FF 00000600
	v_mfma_f32_16x16x32_fp8_fp8 v[80:83], a[96:97], a[24:25], v[80:83]// 0000000037C0: D3F30050 1D423160
	v_mfma_f32_16x16x32_fp8_fp8 v[80:83], a[98:99], a[26:27], v[80:83]// 0000000037C8: D3F30050 1D423562
	buffer_load_dword v60, s[20:23], 0 offen lds               // 0000000037D0: E0511000 8005003C
	s_add_u32 m0, 0x700, s50                                   // 0000000037D8: 807C32FF 00000700
	v_mfma_f32_16x16x32_fp8_fp8 v[80:83], a[100:101], a[28:29], v[80:83]// 0000000037E0: D3F30050 1D423964
	v_mfma_f32_16x16x32_fp8_fp8 v[80:83], a[102:103], a[30:31], v[80:83]// 0000000037E8: D3F30050 1D423D66
	buffer_load_dword v61, s[20:23], 0 offen lds               // 0000000037F0: E0511000 8005003D
	s_add_u32 m0, 0x800, s50                                   // 0000000037F8: 807C32FF 00000800
	v_mfma_f32_16x16x32_fp8_fp8 v[104:107], a[104:105], a[24:25], v[104:107]// 000000003800: D3F30068 1DA23168
	v_mfma_f32_16x16x32_fp8_fp8 v[104:107], a[106:107], a[26:27], v[104:107]// 000000003808: D3F30068 1DA2356A
	buffer_load_dword v62, s[20:23], 0 offen lds               // 000000003810: E0511000 8005003E
	s_add_u32 m0, 0x900, s50                                   // 000000003818: 807C32FF 00000900
	v_mfma_f32_16x16x32_fp8_fp8 v[104:107], a[108:109], a[28:29], v[104:107]// 000000003820: D3F30068 1DA2396C
	v_mfma_f32_16x16x32_fp8_fp8 v[104:107], a[110:111], a[30:31], v[104:107]// 000000003828: D3F30068 1DA23D6E
	buffer_load_dword v63, s[20:23], 0 offen lds               // 000000003830: E0511000 8005003F
	s_add_u32 m0, 0xa00, s50                                   // 000000003838: 807C32FF 00000A00
	v_mfma_f32_16x16x32_fp8_fp8 v[84:87], a[96:97], a[32:33], v[84:87]// 000000003840: D3F30054 1D524160
	v_mfma_f32_16x16x32_fp8_fp8 v[84:87], a[98:99], a[34:35], v[84:87]// 000000003848: D3F30054 1D524562
	buffer_load_dword v64, s[20:23], 0 offen lds               // 000000003850: E0511000 80050040
	s_add_u32 m0, 0xb00, s50                                   // 000000003858: 807C32FF 00000B00
	v_mfma_f32_16x16x32_fp8_fp8 v[84:87], a[100:101], a[36:37], v[84:87]// 000000003860: D3F30054 1D524964
	v_mfma_f32_16x16x32_fp8_fp8 v[84:87], a[102:103], a[38:39], v[84:87]// 000000003868: D3F30054 1D524D66
	buffer_load_dword v65, s[20:23], 0 offen lds               // 000000003870: E0511000 80050041
	s_add_u32 m0, 0, s48                                       // 000000003878: 807C3080
	v_mfma_f32_16x16x32_fp8_fp8 v[108:111], a[104:105], a[32:33], v[108:111]// 00000000387C: D3F3006C 1DB24168
	v_mfma_f32_16x16x32_fp8_fp8 v[108:111], a[106:107], a[34:35], v[108:111]// 000000003884: D3F3006C 1DB2456A
	v_mfma_f32_16x16x32_fp8_fp8 v[108:111], a[108:109], a[36:37], v[108:111]// 00000000388C: D3F3006C 1DB2496C
	v_mfma_f32_16x16x32_fp8_fp8 v[108:111], a[110:111], a[38:39], v[108:111]// 000000003894: D3F3006C 1DB24D6E
	v_mfma_f32_16x16x32_fp8_fp8 v[88:91], a[96:97], a[40:41], v[88:91]// 00000000389C: D3F30058 1D625160
	v_mfma_f32_16x16x32_fp8_fp8 v[88:91], a[98:99], a[42:43], v[88:91]// 0000000038A4: D3F30058 1D625562
	v_mfma_f32_16x16x32_fp8_fp8 v[88:91], a[100:101], a[44:45], v[88:91]// 0000000038AC: D3F30058 1D625964
	v_mfma_f32_16x16x32_fp8_fp8 v[88:91], a[102:103], a[46:47], v[88:91]// 0000000038B4: D3F30058 1D625D66
	v_mfma_f32_16x16x32_fp8_fp8 v[112:115], a[104:105], a[40:41], v[112:115]// 0000000038BC: D3F30070 1DC25168
	v_mfma_f32_16x16x32_fp8_fp8 v[112:115], a[106:107], a[42:43], v[112:115]// 0000000038C4: D3F30070 1DC2556A
	v_mfma_f32_16x16x32_fp8_fp8 v[112:115], a[108:109], a[44:45], v[112:115]// 0000000038CC: D3F30070 1DC2596C
	v_mfma_f32_16x16x32_fp8_fp8 v[112:115], a[110:111], a[46:47], v[112:115]// 0000000038D4: D3F30070 1DC25D6E
	s_waitcnt vmcnt(16)                                        // 0000000038DC: BF8C4F70
	s_barrier                                                  // 0000000038E0: BF8A0000
	v_mfma_f32_16x16x32_fp8_fp8 v[116:119], a[112:113], a[0:1], v[116:119]// 0000000038E4: D3F30074 1DD20170
	v_mfma_f32_16x16x32_fp8_fp8 v[116:119], a[114:115], a[2:3], v[116:119]// 0000000038EC: D3F30074 1DD20572
	buffer_load_dwordx4 a[96:99], v66, s[84:87], 0 offen       // 0000000038F4: E05C1000 80956042
	v_mfma_f32_16x16x32_fp8_fp8 v[116:119], a[116:117], a[4:5], v[116:119]// 0000000038FC: D3F30074 1DD20974
	v_mfma_f32_16x16x32_fp8_fp8 v[116:119], a[118:119], a[6:7], v[116:119]// 000000003904: D3F30074 1DD20D76
	ds_read_b128 a[48:51], v2 offset:12416                     // 00000000390C: DBFE3080 30000002
	ds_read_b128 a[52:55], v2 offset:12480                     // 000000003914: DBFE30C0 34000002
	v_mfma_f32_16x16x32_fp8_fp8 v[140:143], a[120:121], a[0:1], v[140:143]// 00000000391C: D3F3008C 1E320178
	v_mfma_f32_16x16x32_fp8_fp8 v[140:143], a[122:123], a[2:3], v[140:143]// 000000003924: D3F3008C 1E32057A
	buffer_load_dwordx4 a[100:103], v66, s[84:87], 0 offen offset:1024// 00000000392C: E05C1400 80956442
	v_mfma_f32_16x16x32_fp8_fp8 v[140:143], a[124:125], a[4:5], v[140:143]// 000000003934: D3F3008C 1E32097C
	v_mfma_f32_16x16x32_fp8_fp8 v[140:143], a[126:127], a[6:7], v[140:143]// 00000000393C: D3F3008C 1E320D7E
	ds_read_b128 a[56:59], v2 offset:12928                     // 000000003944: DBFE3280 38000002
	ds_read_b128 a[60:63], v2 offset:12992                     // 00000000394C: DBFE32C0 3C000002
	v_mfma_f32_16x16x32_fp8_fp8 v[120:123], a[112:113], a[8:9], v[120:123]// 000000003954: D3F30078 1DE21170
	v_mfma_f32_16x16x32_fp8_fp8 v[120:123], a[114:115], a[10:11], v[120:123]// 00000000395C: D3F30078 1DE21572
	buffer_load_dwordx4 a[104:107], v67, s[84:87], 0 offen     // 000000003964: E05C1000 80956843
	v_mfma_f32_16x16x32_fp8_fp8 v[120:123], a[116:117], a[12:13], v[120:123]// 00000000396C: D3F30078 1DE21974
	v_mfma_f32_16x16x32_fp8_fp8 v[120:123], a[118:119], a[14:15], v[120:123]// 000000003974: D3F30078 1DE21D76
	ds_read_b128 a[64:67], v2 offset:13440                     // 00000000397C: DBFE3480 40000002
	ds_read_b128 a[68:71], v2 offset:13504                     // 000000003984: DBFE34C0 44000002
	v_mfma_f32_16x16x32_fp8_fp8 v[144:147], a[120:121], a[8:9], v[144:147]// 00000000398C: D3F30090 1E421178
	v_mfma_f32_16x16x32_fp8_fp8 v[144:147], a[122:123], a[10:11], v[144:147]// 000000003994: D3F30090 1E42157A
	buffer_load_dwordx4 a[108:111], v67, s[84:87], 0 offen offset:1024// 00000000399C: E05C1400 80956C43
	v_mfma_f32_16x16x32_fp8_fp8 v[144:147], a[124:125], a[12:13], v[144:147]// 0000000039A4: D3F30090 1E42197C
	v_mfma_f32_16x16x32_fp8_fp8 v[144:147], a[126:127], a[14:15], v[144:147]// 0000000039AC: D3F30090 1E421D7E
	ds_read_b128 a[72:75], v2 offset:13952                     // 0000000039B4: DBFE3680 48000002
	ds_read_b128 a[76:79], v2 offset:14016                     // 0000000039BC: DBFE36C0 4C000002
	v_mfma_f32_16x16x32_fp8_fp8 v[124:127], a[112:113], a[16:17], v[124:127]// 0000000039C4: D3F3007C 1DF22170
	v_mfma_f32_16x16x32_fp8_fp8 v[124:127], a[114:115], a[18:19], v[124:127]// 0000000039CC: D3F3007C 1DF22572
	v_mfma_f32_16x16x32_fp8_fp8 v[124:127], a[116:117], a[20:21], v[124:127]// 0000000039D4: D3F3007C 1DF22974
	v_mfma_f32_16x16x32_fp8_fp8 v[124:127], a[118:119], a[22:23], v[124:127]// 0000000039DC: D3F3007C 1DF22D76
	ds_read_b128 a[80:83], v2 offset:14464                     // 0000000039E4: DBFE3880 50000002
	ds_read_b128 a[84:87], v2 offset:14528                     // 0000000039EC: DBFE38C0 54000002
	v_mfma_f32_16x16x32_fp8_fp8 v[148:151], a[120:121], a[16:17], v[148:151]// 0000000039F4: D3F30094 1E522178
	v_mfma_f32_16x16x32_fp8_fp8 v[148:151], a[122:123], a[18:19], v[148:151]// 0000000039FC: D3F30094 1E52257A
	v_mfma_f32_16x16x32_fp8_fp8 v[148:151], a[124:125], a[20:21], v[148:151]// 000000003A04: D3F30094 1E52297C
	v_mfma_f32_16x16x32_fp8_fp8 v[148:151], a[126:127], a[22:23], v[148:151]// 000000003A0C: D3F30094 1E522D7E
	ds_read_b128 a[88:91], v2 offset:14976                     // 000000003A14: DBFE3A80 58000002
	ds_read_b128 a[92:95], v2 offset:15040                     // 000000003A1C: DBFE3AC0 5C000002
	v_mfma_f32_16x16x32_fp8_fp8 v[128:131], a[112:113], a[24:25], v[128:131]// 000000003A24: D3F30080 1E023170
	v_mfma_f32_16x16x32_fp8_fp8 v[128:131], a[114:115], a[26:27], v[128:131]// 000000003A2C: D3F30080 1E023572
	v_mfma_f32_16x16x32_fp8_fp8 v[128:131], a[116:117], a[28:29], v[128:131]// 000000003A34: D3F30080 1E023974
	v_mfma_f32_16x16x32_fp8_fp8 v[128:131], a[118:119], a[30:31], v[128:131]// 000000003A3C: D3F30080 1E023D76
	v_mfma_f32_16x16x32_fp8_fp8 v[152:155], a[120:121], a[24:25], v[152:155]// 000000003A44: D3F30098 1E623178
	v_mfma_f32_16x16x32_fp8_fp8 v[152:155], a[122:123], a[26:27], v[152:155]// 000000003A4C: D3F30098 1E62357A
	v_mfma_f32_16x16x32_fp8_fp8 v[152:155], a[124:125], a[28:29], v[152:155]// 000000003A54: D3F30098 1E62397C
	v_mfma_f32_16x16x32_fp8_fp8 v[152:155], a[126:127], a[30:31], v[152:155]// 000000003A5C: D3F30098 1E623D7E
	v_mfma_f32_16x16x32_fp8_fp8 v[132:135], a[112:113], a[32:33], v[132:135]// 000000003A64: D3F30084 1E124170
	v_mfma_f32_16x16x32_fp8_fp8 v[132:135], a[114:115], a[34:35], v[132:135]// 000000003A6C: D3F30084 1E124572
	v_mfma_f32_16x16x32_fp8_fp8 v[132:135], a[116:117], a[36:37], v[132:135]// 000000003A74: D3F30084 1E124974
	v_mfma_f32_16x16x32_fp8_fp8 v[132:135], a[118:119], a[38:39], v[132:135]// 000000003A7C: D3F30084 1E124D76
	v_mfma_f32_16x16x32_fp8_fp8 v[156:159], a[120:121], a[32:33], v[156:159]// 000000003A84: D3F3009C 1E724178
	v_mfma_f32_16x16x32_fp8_fp8 v[156:159], a[122:123], a[34:35], v[156:159]// 000000003A8C: D3F3009C 1E72457A
	v_mfma_f32_16x16x32_fp8_fp8 v[156:159], a[124:125], a[36:37], v[156:159]// 000000003A94: D3F3009C 1E72497C
	v_mfma_f32_16x16x32_fp8_fp8 v[156:159], a[126:127], a[38:39], v[156:159]// 000000003A9C: D3F3009C 1E724D7E
	v_mfma_f32_16x16x32_fp8_fp8 v[136:139], a[112:113], a[40:41], v[136:139]// 000000003AA4: D3F30088 1E225170
	s_add_u32 s60, 0x180, s80                                  // 000000003AAC: 803C50FF 00000180
	s_cmp_lt_u32 s60, s81                                      // 000000003AB4: BF0A513C
	s_cselect_b32 s57, s57, 0                                  // 000000003AB8: 85398039
	v_mfma_f32_16x16x32_fp8_fp8 v[136:139], a[114:115], a[42:43], v[136:139]// 000000003ABC: D3F30088 1E225572
	s_add_u32 s60, 0x100, s80                                  // 000000003AC4: 803C50FF 00000100
	s_cmp_lt_u32 s60, s81                                      // 000000003ACC: BF0A513C
	s_cselect_b32 s58, s58, 0                                  // 000000003AD0: 853A803A
	v_mfma_f32_16x16x32_fp8_fp8 v[136:139], a[116:117], a[44:45], v[136:139]// 000000003AD4: D3F30088 1E225974
	s_add_u32 s60, 0x100, s80                                  // 000000003ADC: 803C50FF 00000100
	s_cmp_lt_u32 s60, s81                                      // 000000003AE4: BF0A513C
	s_cselect_b32 s83, s83, 0                                  // 000000003AE8: 85538053
	v_mfma_f32_16x16x32_fp8_fp8 v[136:139], a[118:119], a[46:47], v[136:139]// 000000003AEC: D3F30088 1E225D76
	s_add_u32 s24, s58, s24                                    // 000000003AF4: 8018183A
	s_addc_u32 s25, 0, s25                                     // 000000003AF8: 82191980
	v_mfma_f32_16x16x32_fp8_fp8 v[160:163], a[120:121], a[40:41], v[160:163]// 000000003AFC: D3F300A0 1E825178
	s_add_u32 s20, s57, s20                                    // 000000003B04: 80141439
	s_addc_u32 s21, 0, s21                                     // 000000003B08: 82151580
	v_mfma_f32_16x16x32_fp8_fp8 v[160:163], a[122:123], a[42:43], v[160:163]// 000000003B0C: D3F300A0 1E82557A
	s_add_u32 s84, s83, s84                                    // 000000003B14: 80545453
	s_addc_u32 s85, 0, s85                                     // 000000003B18: 82555580
	v_mfma_f32_16x16x32_fp8_fp8 v[160:163], a[124:125], a[44:45], v[160:163]// 000000003B1C: D3F300A0 1E82597C
	v_mfma_f32_16x16x32_fp8_fp8 v[160:163], a[126:127], a[46:47], v[160:163]// 000000003B24: D3F300A0 1E825D7E
	s_addk_i32 s80, 0x80                                       // 000000003B2C: B7500080
	s_cmp_lt_i32 s80, s81                                      // 000000003B30: BF045150
	s_cbranch_scc0 label_0A3A                                  // 000000003B34: BF8405EC
	s_waitcnt vmcnt(16) lgkmcnt(0)                             // 000000003B38: BF8C4070
	v_mfma_f32_16x16x32_fp8_fp8 v[68:71], a[128:129], a[48:49], v[68:71]// 000000003B3C: D3F30044 1D126180
	v_mfma_f32_16x16x32_fp8_fp8 v[68:71], a[130:131], a[50:51], v[68:71]// 000000003B44: D3F30044 1D126582
	buffer_load_dwordx4 a[112:115], v66, s[24:27], 0 offen     // 000000003B4C: E05C1000 80867042
	v_mfma_f32_16x16x32_fp8_fp8 v[68:71], a[132:133], a[52:53], v[68:71]// 000000003B54: D3F30044 1D126984
	v_mfma_f32_16x16x32_fp8_fp8 v[68:71], a[134:135], a[54:55], v[68:71]// 000000003B5C: D3F30044 1D126D86
	v_mfma_f32_16x16x32_fp8_fp8 v[92:95], a[136:137], a[48:49], v[92:95]// 000000003B64: D3F3005C 1D726188
	v_mfma_f32_16x16x32_fp8_fp8 v[92:95], a[138:139], a[50:51], v[92:95]// 000000003B6C: D3F3005C 1D72658A
	buffer_load_dwordx4 a[116:119], v66, s[24:27], 0 offen offset:1024// 000000003B74: E05C1400 80867442
	v_mfma_f32_16x16x32_fp8_fp8 v[92:95], a[140:141], a[52:53], v[92:95]// 000000003B7C: D3F3005C 1D72698C
	v_mfma_f32_16x16x32_fp8_fp8 v[92:95], a[142:143], a[54:55], v[92:95]// 000000003B84: D3F3005C 1D726D8E
	v_mfma_f32_16x16x32_fp8_fp8 v[72:75], a[128:129], a[56:57], v[72:75]// 000000003B8C: D3F30048 1D227180
	v_mfma_f32_16x16x32_fp8_fp8 v[72:75], a[130:131], a[58:59], v[72:75]// 000000003B94: D3F30048 1D227582
	buffer_load_dwordx4 a[120:123], v67, s[24:27], 0 offen     // 000000003B9C: E05C1000 80867843
	v_mfma_f32_16x16x32_fp8_fp8 v[72:75], a[132:133], a[60:61], v[72:75]// 000000003BA4: D3F30048 1D227984
	v_mfma_f32_16x16x32_fp8_fp8 v[72:75], a[134:135], a[62:63], v[72:75]// 000000003BAC: D3F30048 1D227D86
	v_mfma_f32_16x16x32_fp8_fp8 v[96:99], a[136:137], a[56:57], v[96:99]// 000000003BB4: D3F30060 1D827188
	v_mfma_f32_16x16x32_fp8_fp8 v[96:99], a[138:139], a[58:59], v[96:99]// 000000003BBC: D3F30060 1D82758A
	buffer_load_dwordx4 a[124:127], v67, s[24:27], 0 offen offset:1024// 000000003BC4: E05C1400 80867C43
	buffer_load_dword v54, s[20:23], 0 offen lds               // 000000003BCC: E0511000 80050036
	s_add_u32 m0, 0x100, s48                                   // 000000003BD4: 807C30FF 00000100
	v_mfma_f32_16x16x32_fp8_fp8 v[96:99], a[140:141], a[60:61], v[96:99]// 000000003BDC: D3F30060 1D82798C
	v_mfma_f32_16x16x32_fp8_fp8 v[96:99], a[142:143], a[62:63], v[96:99]// 000000003BE4: D3F30060 1D827D8E
	buffer_load_dword v55, s[20:23], 0 offen lds               // 000000003BEC: E0511000 80050037
	s_add_u32 m0, 0x200, s48                                   // 000000003BF4: 807C30FF 00000200
	v_mfma_f32_16x16x32_fp8_fp8 v[76:79], a[128:129], a[64:65], v[76:79]// 000000003BFC: D3F3004C 1D328180
	v_mfma_f32_16x16x32_fp8_fp8 v[76:79], a[130:131], a[66:67], v[76:79]// 000000003C04: D3F3004C 1D328582
	buffer_load_dword v56, s[20:23], 0 offen lds               // 000000003C0C: E0511000 80050038
	s_add_u32 m0, 0x300, s48                                   // 000000003C14: 807C30FF 00000300
	v_mfma_f32_16x16x32_fp8_fp8 v[76:79], a[132:133], a[68:69], v[76:79]// 000000003C1C: D3F3004C 1D328984
	v_mfma_f32_16x16x32_fp8_fp8 v[76:79], a[134:135], a[70:71], v[76:79]// 000000003C24: D3F3004C 1D328D86
	buffer_load_dword v57, s[20:23], 0 offen lds               // 000000003C2C: E0511000 80050039
	s_add_u32 m0, 0x400, s48                                   // 000000003C34: 807C30FF 00000400
	v_mfma_f32_16x16x32_fp8_fp8 v[100:103], a[136:137], a[64:65], v[100:103]// 000000003C3C: D3F30064 1D928188
	v_mfma_f32_16x16x32_fp8_fp8 v[100:103], a[138:139], a[66:67], v[100:103]// 000000003C44: D3F30064 1D92858A
	buffer_load_dword v58, s[20:23], 0 offen lds               // 000000003C4C: E0511000 8005003A
	s_add_u32 m0, 0x500, s48                                   // 000000003C54: 807C30FF 00000500
	v_mfma_f32_16x16x32_fp8_fp8 v[100:103], a[140:141], a[68:69], v[100:103]// 000000003C5C: D3F30064 1D92898C
	v_mfma_f32_16x16x32_fp8_fp8 v[100:103], a[142:143], a[70:71], v[100:103]// 000000003C64: D3F30064 1D928D8E
	buffer_load_dword v59, s[20:23], 0 offen lds               // 000000003C6C: E0511000 8005003B
	s_add_u32 m0, 0x600, s48                                   // 000000003C74: 807C30FF 00000600
	v_mfma_f32_16x16x32_fp8_fp8 v[80:83], a[128:129], a[72:73], v[80:83]// 000000003C7C: D3F30050 1D429180
	v_mfma_f32_16x16x32_fp8_fp8 v[80:83], a[130:131], a[74:75], v[80:83]// 000000003C84: D3F30050 1D429582
	buffer_load_dword v60, s[20:23], 0 offen lds               // 000000003C8C: E0511000 8005003C
	s_add_u32 m0, 0x700, s48                                   // 000000003C94: 807C30FF 00000700
	v_mfma_f32_16x16x32_fp8_fp8 v[80:83], a[132:133], a[76:77], v[80:83]// 000000003C9C: D3F30050 1D429984
	v_mfma_f32_16x16x32_fp8_fp8 v[80:83], a[134:135], a[78:79], v[80:83]// 000000003CA4: D3F30050 1D429D86
	buffer_load_dword v61, s[20:23], 0 offen lds               // 000000003CAC: E0511000 8005003D
	s_add_u32 m0, 0x800, s48                                   // 000000003CB4: 807C30FF 00000800
	v_mfma_f32_16x16x32_fp8_fp8 v[104:107], a[136:137], a[72:73], v[104:107]// 000000003CBC: D3F30068 1DA29188
	v_mfma_f32_16x16x32_fp8_fp8 v[104:107], a[138:139], a[74:75], v[104:107]// 000000003CC4: D3F30068 1DA2958A
	buffer_load_dword v62, s[20:23], 0 offen lds               // 000000003CCC: E0511000 8005003E
	s_add_u32 m0, 0x900, s48                                   // 000000003CD4: 807C30FF 00000900
	v_mfma_f32_16x16x32_fp8_fp8 v[104:107], a[140:141], a[76:77], v[104:107]// 000000003CDC: D3F30068 1DA2998C
	v_mfma_f32_16x16x32_fp8_fp8 v[104:107], a[142:143], a[78:79], v[104:107]// 000000003CE4: D3F30068 1DA29D8E
	buffer_load_dword v63, s[20:23], 0 offen lds               // 000000003CEC: E0511000 8005003F
	s_add_u32 m0, 0xa00, s48                                   // 000000003CF4: 807C30FF 00000A00
	v_mfma_f32_16x16x32_fp8_fp8 v[84:87], a[128:129], a[80:81], v[84:87]// 000000003CFC: D3F30054 1D52A180
	v_mfma_f32_16x16x32_fp8_fp8 v[84:87], a[130:131], a[82:83], v[84:87]// 000000003D04: D3F30054 1D52A582
	buffer_load_dword v64, s[20:23], 0 offen lds               // 000000003D0C: E0511000 80050040
	s_add_u32 m0, 0xb00, s48                                   // 000000003D14: 807C30FF 00000B00
	v_mfma_f32_16x16x32_fp8_fp8 v[84:87], a[132:133], a[84:85], v[84:87]// 000000003D1C: D3F30054 1D52A984
	v_mfma_f32_16x16x32_fp8_fp8 v[84:87], a[134:135], a[86:87], v[84:87]// 000000003D24: D3F30054 1D52AD86
	buffer_load_dword v65, s[20:23], 0 offen lds               // 000000003D2C: E0511000 80050041
	s_add_u32 m0, 0, s49                                       // 000000003D34: 807C3180
	v_mfma_f32_16x16x32_fp8_fp8 v[108:111], a[136:137], a[80:81], v[108:111]// 000000003D38: D3F3006C 1DB2A188
	v_mfma_f32_16x16x32_fp8_fp8 v[108:111], a[138:139], a[82:83], v[108:111]// 000000003D40: D3F3006C 1DB2A58A
	v_mfma_f32_16x16x32_fp8_fp8 v[108:111], a[140:141], a[84:85], v[108:111]// 000000003D48: D3F3006C 1DB2A98C
	v_mfma_f32_16x16x32_fp8_fp8 v[108:111], a[142:143], a[86:87], v[108:111]// 000000003D50: D3F3006C 1DB2AD8E
	v_mfma_f32_16x16x32_fp8_fp8 v[88:91], a[128:129], a[88:89], v[88:91]// 000000003D58: D3F30058 1D62B180
	v_mfma_f32_16x16x32_fp8_fp8 v[88:91], a[130:131], a[90:91], v[88:91]// 000000003D60: D3F30058 1D62B582
	v_mfma_f32_16x16x32_fp8_fp8 v[88:91], a[132:133], a[92:93], v[88:91]// 000000003D68: D3F30058 1D62B984
	v_mfma_f32_16x16x32_fp8_fp8 v[88:91], a[134:135], a[94:95], v[88:91]// 000000003D70: D3F30058 1D62BD86
	v_mfma_f32_16x16x32_fp8_fp8 v[112:115], a[136:137], a[88:89], v[112:115]// 000000003D78: D3F30070 1DC2B188
	v_mfma_f32_16x16x32_fp8_fp8 v[112:115], a[138:139], a[90:91], v[112:115]// 000000003D80: D3F30070 1DC2B58A
	v_mfma_f32_16x16x32_fp8_fp8 v[112:115], a[140:141], a[92:93], v[112:115]// 000000003D88: D3F30070 1DC2B98C
	v_mfma_f32_16x16x32_fp8_fp8 v[112:115], a[142:143], a[94:95], v[112:115]// 000000003D90: D3F30070 1DC2BD8E
	s_waitcnt vmcnt(16)                                        // 000000003D98: BF8C4F70
	s_barrier                                                  // 000000003D9C: BF8A0000
	v_mfma_f32_16x16x32_fp8_fp8 v[116:119], a[96:97], a[48:49], v[116:119]// 000000003DA0: D3F30074 1DD26160
	v_mfma_f32_16x16x32_fp8_fp8 v[116:119], a[98:99], a[50:51], v[116:119]// 000000003DA8: D3F30074 1DD26562
	buffer_load_dwordx4 a[128:131], v66, s[84:87], 0 offen     // 000000003DB0: E05C1000 80958042
	v_mfma_f32_16x16x32_fp8_fp8 v[116:119], a[100:101], a[52:53], v[116:119]// 000000003DB8: D3F30074 1DD26964
	v_mfma_f32_16x16x32_fp8_fp8 v[116:119], a[102:103], a[54:55], v[116:119]// 000000003DC0: D3F30074 1DD26D66
	ds_read_b128 a[0:3], v2 offset:24832                       // 000000003DC8: DBFE6100 00000002
	ds_read_b128 a[4:7], v2 offset:24896                       // 000000003DD0: DBFE6140 04000002
	v_mfma_f32_16x16x32_fp8_fp8 v[140:143], a[104:105], a[48:49], v[140:143]// 000000003DD8: D3F3008C 1E326168
	v_mfma_f32_16x16x32_fp8_fp8 v[140:143], a[106:107], a[50:51], v[140:143]// 000000003DE0: D3F3008C 1E32656A
	buffer_load_dwordx4 a[132:135], v66, s[84:87], 0 offen offset:1024// 000000003DE8: E05C1400 80958442
	v_mfma_f32_16x16x32_fp8_fp8 v[140:143], a[108:109], a[52:53], v[140:143]// 000000003DF0: D3F3008C 1E32696C
	v_mfma_f32_16x16x32_fp8_fp8 v[140:143], a[110:111], a[54:55], v[140:143]// 000000003DF8: D3F3008C 1E326D6E
	ds_read_b128 a[8:11], v2 offset:25344                      // 000000003E00: DBFE6300 08000002
	ds_read_b128 a[12:15], v2 offset:25408                     // 000000003E08: DBFE6340 0C000002
	v_mfma_f32_16x16x32_fp8_fp8 v[120:123], a[96:97], a[56:57], v[120:123]// 000000003E10: D3F30078 1DE27160
	v_mfma_f32_16x16x32_fp8_fp8 v[120:123], a[98:99], a[58:59], v[120:123]// 000000003E18: D3F30078 1DE27562
	buffer_load_dwordx4 a[136:139], v67, s[84:87], 0 offen     // 000000003E20: E05C1000 80958843
	v_mfma_f32_16x16x32_fp8_fp8 v[120:123], a[100:101], a[60:61], v[120:123]// 000000003E28: D3F30078 1DE27964
	v_mfma_f32_16x16x32_fp8_fp8 v[120:123], a[102:103], a[62:63], v[120:123]// 000000003E30: D3F30078 1DE27D66
	ds_read_b128 a[16:19], v2 offset:25856                     // 000000003E38: DBFE6500 10000002
	ds_read_b128 a[20:23], v2 offset:25920                     // 000000003E40: DBFE6540 14000002
	v_mfma_f32_16x16x32_fp8_fp8 v[144:147], a[104:105], a[56:57], v[144:147]// 000000003E48: D3F30090 1E427168
	v_mfma_f32_16x16x32_fp8_fp8 v[144:147], a[106:107], a[58:59], v[144:147]// 000000003E50: D3F30090 1E42756A
	buffer_load_dwordx4 a[140:143], v67, s[84:87], 0 offen offset:1024// 000000003E58: E05C1400 80958C43
	v_mfma_f32_16x16x32_fp8_fp8 v[144:147], a[108:109], a[60:61], v[144:147]// 000000003E60: D3F30090 1E42796C
	v_mfma_f32_16x16x32_fp8_fp8 v[144:147], a[110:111], a[62:63], v[144:147]// 000000003E68: D3F30090 1E427D6E
	ds_read_b128 a[24:27], v2 offset:26368                     // 000000003E70: DBFE6700 18000002
	ds_read_b128 a[28:31], v2 offset:26432                     // 000000003E78: DBFE6740 1C000002
	v_mfma_f32_16x16x32_fp8_fp8 v[124:127], a[96:97], a[64:65], v[124:127]// 000000003E80: D3F3007C 1DF28160
	v_mfma_f32_16x16x32_fp8_fp8 v[124:127], a[98:99], a[66:67], v[124:127]// 000000003E88: D3F3007C 1DF28562
	v_mfma_f32_16x16x32_fp8_fp8 v[124:127], a[100:101], a[68:69], v[124:127]// 000000003E90: D3F3007C 1DF28964
	v_mfma_f32_16x16x32_fp8_fp8 v[124:127], a[102:103], a[70:71], v[124:127]// 000000003E98: D3F3007C 1DF28D66
	ds_read_b128 a[32:35], v2 offset:26880                     // 000000003EA0: DBFE6900 20000002
	ds_read_b128 a[36:39], v2 offset:26944                     // 000000003EA8: DBFE6940 24000002
	v_mfma_f32_16x16x32_fp8_fp8 v[148:151], a[104:105], a[64:65], v[148:151]// 000000003EB0: D3F30094 1E528168
	v_mfma_f32_16x16x32_fp8_fp8 v[148:151], a[106:107], a[66:67], v[148:151]// 000000003EB8: D3F30094 1E52856A
	v_mfma_f32_16x16x32_fp8_fp8 v[148:151], a[108:109], a[68:69], v[148:151]// 000000003EC0: D3F30094 1E52896C
	v_mfma_f32_16x16x32_fp8_fp8 v[148:151], a[110:111], a[70:71], v[148:151]// 000000003EC8: D3F30094 1E528D6E
	ds_read_b128 a[40:43], v2 offset:27392                     // 000000003ED0: DBFE6B00 28000002
	ds_read_b128 a[44:47], v2 offset:27456                     // 000000003ED8: DBFE6B40 2C000002
	v_mfma_f32_16x16x32_fp8_fp8 v[128:131], a[96:97], a[72:73], v[128:131]// 000000003EE0: D3F30080 1E029160
	v_mfma_f32_16x16x32_fp8_fp8 v[128:131], a[98:99], a[74:75], v[128:131]// 000000003EE8: D3F30080 1E029562
	v_mfma_f32_16x16x32_fp8_fp8 v[128:131], a[100:101], a[76:77], v[128:131]// 000000003EF0: D3F30080 1E029964
	v_mfma_f32_16x16x32_fp8_fp8 v[128:131], a[102:103], a[78:79], v[128:131]// 000000003EF8: D3F30080 1E029D66
	v_mfma_f32_16x16x32_fp8_fp8 v[152:155], a[104:105], a[72:73], v[152:155]// 000000003F00: D3F30098 1E629168
	v_mfma_f32_16x16x32_fp8_fp8 v[152:155], a[106:107], a[74:75], v[152:155]// 000000003F08: D3F30098 1E62956A
	v_mfma_f32_16x16x32_fp8_fp8 v[152:155], a[108:109], a[76:77], v[152:155]// 000000003F10: D3F30098 1E62996C
	v_mfma_f32_16x16x32_fp8_fp8 v[152:155], a[110:111], a[78:79], v[152:155]// 000000003F18: D3F30098 1E629D6E
	v_mfma_f32_16x16x32_fp8_fp8 v[132:135], a[96:97], a[80:81], v[132:135]// 000000003F20: D3F30084 1E12A160
	v_mfma_f32_16x16x32_fp8_fp8 v[132:135], a[98:99], a[82:83], v[132:135]// 000000003F28: D3F30084 1E12A562
	v_mfma_f32_16x16x32_fp8_fp8 v[132:135], a[100:101], a[84:85], v[132:135]// 000000003F30: D3F30084 1E12A964
	v_mfma_f32_16x16x32_fp8_fp8 v[132:135], a[102:103], a[86:87], v[132:135]// 000000003F38: D3F30084 1E12AD66
	v_mfma_f32_16x16x32_fp8_fp8 v[156:159], a[104:105], a[80:81], v[156:159]// 000000003F40: D3F3009C 1E72A168
	v_mfma_f32_16x16x32_fp8_fp8 v[156:159], a[106:107], a[82:83], v[156:159]// 000000003F48: D3F3009C 1E72A56A
	v_mfma_f32_16x16x32_fp8_fp8 v[156:159], a[108:109], a[84:85], v[156:159]// 000000003F50: D3F3009C 1E72A96C
	v_mfma_f32_16x16x32_fp8_fp8 v[156:159], a[110:111], a[86:87], v[156:159]// 000000003F58: D3F3009C 1E72AD6E
	v_mfma_f32_16x16x32_fp8_fp8 v[136:139], a[96:97], a[88:89], v[136:139]// 000000003F60: D3F30088 1E22B160
	s_add_u32 s60, 0x180, s80                                  // 000000003F68: 803C50FF 00000180
	s_cmp_lt_u32 s60, s81                                      // 000000003F70: BF0A513C
	s_cselect_b32 s57, s57, 0                                  // 000000003F74: 85398039
	v_mfma_f32_16x16x32_fp8_fp8 v[136:139], a[98:99], a[90:91], v[136:139]// 000000003F78: D3F30088 1E22B562
	s_add_u32 s60, 0x100, s80                                  // 000000003F80: 803C50FF 00000100
	s_cmp_lt_u32 s60, s81                                      // 000000003F88: BF0A513C
	s_cselect_b32 s58, s58, 0                                  // 000000003F8C: 853A803A
	v_mfma_f32_16x16x32_fp8_fp8 v[136:139], a[100:101], a[92:93], v[136:139]// 000000003F90: D3F30088 1E22B964
	s_add_u32 s60, 0x100, s80                                  // 000000003F98: 803C50FF 00000100
	s_cmp_lt_u32 s60, s81                                      // 000000003FA0: BF0A513C
	s_cselect_b32 s83, s83, 0                                  // 000000003FA4: 85538053
	v_mfma_f32_16x16x32_fp8_fp8 v[136:139], a[102:103], a[94:95], v[136:139]// 000000003FA8: D3F30088 1E22BD66
	s_add_u32 s24, s58, s24                                    // 000000003FB0: 8018183A
	s_addc_u32 s25, 0, s25                                     // 000000003FB4: 82191980
	v_mfma_f32_16x16x32_fp8_fp8 v[160:163], a[104:105], a[88:89], v[160:163]// 000000003FB8: D3F300A0 1E82B168
	s_add_u32 s20, s57, s20                                    // 000000003FC0: 80141439
	s_addc_u32 s21, 0, s21                                     // 000000003FC4: 82151580
	v_mfma_f32_16x16x32_fp8_fp8 v[160:163], a[106:107], a[90:91], v[160:163]// 000000003FC8: D3F300A0 1E82B56A
	s_add_u32 s84, s83, s84                                    // 000000003FD0: 80545453
	s_addc_u32 s85, 0, s85                                     // 000000003FD4: 82555580
	v_mfma_f32_16x16x32_fp8_fp8 v[160:163], a[108:109], a[92:93], v[160:163]// 000000003FD8: D3F300A0 1E82B96C
	v_mfma_f32_16x16x32_fp8_fp8 v[160:163], a[110:111], a[94:95], v[160:163]// 000000003FE0: D3F300A0 1E82BD6E
	s_addk_i32 s80, 0x80                                       // 000000003FE8: B7500080
	s_cmp_lt_i32 s80, s81                                      // 000000003FEC: BF045150
	s_cbranch_scc0 label_0A3A                                  // 000000003FF0: BF8404BD
	s_waitcnt vmcnt(16) lgkmcnt(0)                             // 000000003FF4: BF8C4070
	v_mfma_f32_16x16x32_fp8_fp8 v[68:71], a[112:113], a[0:1], v[68:71]// 000000003FF8: D3F30044 1D120170
	v_mfma_f32_16x16x32_fp8_fp8 v[68:71], a[114:115], a[2:3], v[68:71]// 000000004000: D3F30044 1D120572
	buffer_load_dwordx4 a[96:99], v66, s[24:27], 0 offen       // 000000004008: E05C1000 80866042
	v_mfma_f32_16x16x32_fp8_fp8 v[68:71], a[116:117], a[4:5], v[68:71]// 000000004010: D3F30044 1D120974
	v_mfma_f32_16x16x32_fp8_fp8 v[68:71], a[118:119], a[6:7], v[68:71]// 000000004018: D3F30044 1D120D76
	v_mfma_f32_16x16x32_fp8_fp8 v[92:95], a[120:121], a[0:1], v[92:95]// 000000004020: D3F3005C 1D720178
	v_mfma_f32_16x16x32_fp8_fp8 v[92:95], a[122:123], a[2:3], v[92:95]// 000000004028: D3F3005C 1D72057A
	buffer_load_dwordx4 a[100:103], v66, s[24:27], 0 offen offset:1024// 000000004030: E05C1400 80866442
	v_mfma_f32_16x16x32_fp8_fp8 v[92:95], a[124:125], a[4:5], v[92:95]// 000000004038: D3F3005C 1D72097C
	v_mfma_f32_16x16x32_fp8_fp8 v[92:95], a[126:127], a[6:7], v[92:95]// 000000004040: D3F3005C 1D720D7E
	v_mfma_f32_16x16x32_fp8_fp8 v[72:75], a[112:113], a[8:9], v[72:75]// 000000004048: D3F30048 1D221170
	v_mfma_f32_16x16x32_fp8_fp8 v[72:75], a[114:115], a[10:11], v[72:75]// 000000004050: D3F30048 1D221572
	buffer_load_dwordx4 a[104:107], v67, s[24:27], 0 offen     // 000000004058: E05C1000 80866843
	v_mfma_f32_16x16x32_fp8_fp8 v[72:75], a[116:117], a[12:13], v[72:75]// 000000004060: D3F30048 1D221974
	v_mfma_f32_16x16x32_fp8_fp8 v[72:75], a[118:119], a[14:15], v[72:75]// 000000004068: D3F30048 1D221D76
	v_mfma_f32_16x16x32_fp8_fp8 v[96:99], a[120:121], a[8:9], v[96:99]// 000000004070: D3F30060 1D821178
	v_mfma_f32_16x16x32_fp8_fp8 v[96:99], a[122:123], a[10:11], v[96:99]// 000000004078: D3F30060 1D82157A
	buffer_load_dwordx4 a[108:111], v67, s[24:27], 0 offen offset:1024// 000000004080: E05C1400 80866C43
	buffer_load_dword v54, s[20:23], 0 offen lds               // 000000004088: E0511000 80050036
	s_add_u32 m0, 0x100, s49                                   // 000000004090: 807C31FF 00000100
	v_mfma_f32_16x16x32_fp8_fp8 v[96:99], a[124:125], a[12:13], v[96:99]// 000000004098: D3F30060 1D82197C
	v_mfma_f32_16x16x32_fp8_fp8 v[96:99], a[126:127], a[14:15], v[96:99]// 0000000040A0: D3F30060 1D821D7E
	buffer_load_dword v55, s[20:23], 0 offen lds               // 0000000040A8: E0511000 80050037
	s_add_u32 m0, 0x200, s49                                   // 0000000040B0: 807C31FF 00000200
	v_mfma_f32_16x16x32_fp8_fp8 v[76:79], a[112:113], a[16:17], v[76:79]// 0000000040B8: D3F3004C 1D322170
	v_mfma_f32_16x16x32_fp8_fp8 v[76:79], a[114:115], a[18:19], v[76:79]// 0000000040C0: D3F3004C 1D322572
	buffer_load_dword v56, s[20:23], 0 offen lds               // 0000000040C8: E0511000 80050038
	s_add_u32 m0, 0x300, s49                                   // 0000000040D0: 807C31FF 00000300
	v_mfma_f32_16x16x32_fp8_fp8 v[76:79], a[116:117], a[20:21], v[76:79]// 0000000040D8: D3F3004C 1D322974
	v_mfma_f32_16x16x32_fp8_fp8 v[76:79], a[118:119], a[22:23], v[76:79]// 0000000040E0: D3F3004C 1D322D76
	buffer_load_dword v57, s[20:23], 0 offen lds               // 0000000040E8: E0511000 80050039
	s_add_u32 m0, 0x400, s49                                   // 0000000040F0: 807C31FF 00000400
	v_mfma_f32_16x16x32_fp8_fp8 v[100:103], a[120:121], a[16:17], v[100:103]// 0000000040F8: D3F30064 1D922178
	v_mfma_f32_16x16x32_fp8_fp8 v[100:103], a[122:123], a[18:19], v[100:103]// 000000004100: D3F30064 1D92257A
	buffer_load_dword v58, s[20:23], 0 offen lds               // 000000004108: E0511000 8005003A
	s_add_u32 m0, 0x500, s49                                   // 000000004110: 807C31FF 00000500
	v_mfma_f32_16x16x32_fp8_fp8 v[100:103], a[124:125], a[20:21], v[100:103]// 000000004118: D3F30064 1D92297C
	v_mfma_f32_16x16x32_fp8_fp8 v[100:103], a[126:127], a[22:23], v[100:103]// 000000004120: D3F30064 1D922D7E
	buffer_load_dword v59, s[20:23], 0 offen lds               // 000000004128: E0511000 8005003B
	s_add_u32 m0, 0x600, s49                                   // 000000004130: 807C31FF 00000600
	v_mfma_f32_16x16x32_fp8_fp8 v[80:83], a[112:113], a[24:25], v[80:83]// 000000004138: D3F30050 1D423170
	v_mfma_f32_16x16x32_fp8_fp8 v[80:83], a[114:115], a[26:27], v[80:83]// 000000004140: D3F30050 1D423572
	buffer_load_dword v60, s[20:23], 0 offen lds               // 000000004148: E0511000 8005003C
	s_add_u32 m0, 0x700, s49                                   // 000000004150: 807C31FF 00000700
	v_mfma_f32_16x16x32_fp8_fp8 v[80:83], a[116:117], a[28:29], v[80:83]// 000000004158: D3F30050 1D423974
	v_mfma_f32_16x16x32_fp8_fp8 v[80:83], a[118:119], a[30:31], v[80:83]// 000000004160: D3F30050 1D423D76
	buffer_load_dword v61, s[20:23], 0 offen lds               // 000000004168: E0511000 8005003D
	s_add_u32 m0, 0x800, s49                                   // 000000004170: 807C31FF 00000800
	v_mfma_f32_16x16x32_fp8_fp8 v[104:107], a[120:121], a[24:25], v[104:107]// 000000004178: D3F30068 1DA23178
	v_mfma_f32_16x16x32_fp8_fp8 v[104:107], a[122:123], a[26:27], v[104:107]// 000000004180: D3F30068 1DA2357A
	buffer_load_dword v62, s[20:23], 0 offen lds               // 000000004188: E0511000 8005003E
	s_add_u32 m0, 0x900, s49                                   // 000000004190: 807C31FF 00000900
	v_mfma_f32_16x16x32_fp8_fp8 v[104:107], a[124:125], a[28:29], v[104:107]// 000000004198: D3F30068 1DA2397C
	v_mfma_f32_16x16x32_fp8_fp8 v[104:107], a[126:127], a[30:31], v[104:107]// 0000000041A0: D3F30068 1DA23D7E
	buffer_load_dword v63, s[20:23], 0 offen lds               // 0000000041A8: E0511000 8005003F
	s_add_u32 m0, 0xa00, s49                                   // 0000000041B0: 807C31FF 00000A00
	v_mfma_f32_16x16x32_fp8_fp8 v[84:87], a[112:113], a[32:33], v[84:87]// 0000000041B8: D3F30054 1D524170
	v_mfma_f32_16x16x32_fp8_fp8 v[84:87], a[114:115], a[34:35], v[84:87]// 0000000041C0: D3F30054 1D524572
	buffer_load_dword v64, s[20:23], 0 offen lds               // 0000000041C8: E0511000 80050040
	s_add_u32 m0, 0xb00, s49                                   // 0000000041D0: 807C31FF 00000B00
	v_mfma_f32_16x16x32_fp8_fp8 v[84:87], a[116:117], a[36:37], v[84:87]// 0000000041D8: D3F30054 1D524974
	v_mfma_f32_16x16x32_fp8_fp8 v[84:87], a[118:119], a[38:39], v[84:87]// 0000000041E0: D3F30054 1D524D76
	buffer_load_dword v65, s[20:23], 0 offen lds               // 0000000041E8: E0511000 80050041
	s_add_u32 m0, 0, s50                                       // 0000000041F0: 807C3280
	v_mfma_f32_16x16x32_fp8_fp8 v[108:111], a[120:121], a[32:33], v[108:111]// 0000000041F4: D3F3006C 1DB24178
	v_mfma_f32_16x16x32_fp8_fp8 v[108:111], a[122:123], a[34:35], v[108:111]// 0000000041FC: D3F3006C 1DB2457A
	v_mfma_f32_16x16x32_fp8_fp8 v[108:111], a[124:125], a[36:37], v[108:111]// 000000004204: D3F3006C 1DB2497C
	v_mfma_f32_16x16x32_fp8_fp8 v[108:111], a[126:127], a[38:39], v[108:111]// 00000000420C: D3F3006C 1DB24D7E
	v_mfma_f32_16x16x32_fp8_fp8 v[88:91], a[112:113], a[40:41], v[88:91]// 000000004214: D3F30058 1D625170
	v_mfma_f32_16x16x32_fp8_fp8 v[88:91], a[114:115], a[42:43], v[88:91]// 00000000421C: D3F30058 1D625572
	v_mfma_f32_16x16x32_fp8_fp8 v[88:91], a[116:117], a[44:45], v[88:91]// 000000004224: D3F30058 1D625974
	v_mfma_f32_16x16x32_fp8_fp8 v[88:91], a[118:119], a[46:47], v[88:91]// 00000000422C: D3F30058 1D625D76
	v_mfma_f32_16x16x32_fp8_fp8 v[112:115], a[120:121], a[40:41], v[112:115]// 000000004234: D3F30070 1DC25178
	v_mfma_f32_16x16x32_fp8_fp8 v[112:115], a[122:123], a[42:43], v[112:115]// 00000000423C: D3F30070 1DC2557A
	v_mfma_f32_16x16x32_fp8_fp8 v[112:115], a[124:125], a[44:45], v[112:115]// 000000004244: D3F30070 1DC2597C
	v_mfma_f32_16x16x32_fp8_fp8 v[112:115], a[126:127], a[46:47], v[112:115]// 00000000424C: D3F30070 1DC25D7E
	s_waitcnt vmcnt(16)                                        // 000000004254: BF8C4F70
	s_barrier                                                  // 000000004258: BF8A0000
	v_mfma_f32_16x16x32_fp8_fp8 v[116:119], a[128:129], a[0:1], v[116:119]// 00000000425C: D3F30074 1DD20180
	v_mfma_f32_16x16x32_fp8_fp8 v[116:119], a[130:131], a[2:3], v[116:119]// 000000004264: D3F30074 1DD20582
	buffer_load_dwordx4 a[112:115], v66, s[84:87], 0 offen     // 00000000426C: E05C1000 80957042
	v_mfma_f32_16x16x32_fp8_fp8 v[116:119], a[132:133], a[4:5], v[116:119]// 000000004274: D3F30074 1DD20984
	v_mfma_f32_16x16x32_fp8_fp8 v[116:119], a[134:135], a[6:7], v[116:119]// 00000000427C: D3F30074 1DD20D86
	ds_read_b128 a[48:51], v2                                  // 000000004284: DBFE0000 30000002
	ds_read_b128 a[52:55], v2 offset:64                        // 00000000428C: DBFE0040 34000002
	v_mfma_f32_16x16x32_fp8_fp8 v[140:143], a[136:137], a[0:1], v[140:143]// 000000004294: D3F3008C 1E320188
	v_mfma_f32_16x16x32_fp8_fp8 v[140:143], a[138:139], a[2:3], v[140:143]// 00000000429C: D3F3008C 1E32058A
	buffer_load_dwordx4 a[116:119], v66, s[84:87], 0 offen offset:1024// 0000000042A4: E05C1400 80957442
	v_mfma_f32_16x16x32_fp8_fp8 v[140:143], a[140:141], a[4:5], v[140:143]// 0000000042AC: D3F3008C 1E32098C
	v_mfma_f32_16x16x32_fp8_fp8 v[140:143], a[142:143], a[6:7], v[140:143]// 0000000042B4: D3F3008C 1E320D8E
	ds_read_b128 a[56:59], v2 offset:512                       // 0000000042BC: DBFE0200 38000002
	ds_read_b128 a[60:63], v2 offset:576                       // 0000000042C4: DBFE0240 3C000002
	v_mfma_f32_16x16x32_fp8_fp8 v[120:123], a[128:129], a[8:9], v[120:123]// 0000000042CC: D3F30078 1DE21180
	v_mfma_f32_16x16x32_fp8_fp8 v[120:123], a[130:131], a[10:11], v[120:123]// 0000000042D4: D3F30078 1DE21582
	buffer_load_dwordx4 a[120:123], v67, s[84:87], 0 offen     // 0000000042DC: E05C1000 80957843
	v_mfma_f32_16x16x32_fp8_fp8 v[120:123], a[132:133], a[12:13], v[120:123]// 0000000042E4: D3F30078 1DE21984
	v_mfma_f32_16x16x32_fp8_fp8 v[120:123], a[134:135], a[14:15], v[120:123]// 0000000042EC: D3F30078 1DE21D86
	ds_read_b128 a[64:67], v2 offset:1024                      // 0000000042F4: DBFE0400 40000002
	ds_read_b128 a[68:71], v2 offset:1088                      // 0000000042FC: DBFE0440 44000002
	v_mfma_f32_16x16x32_fp8_fp8 v[144:147], a[136:137], a[8:9], v[144:147]// 000000004304: D3F30090 1E421188
	v_mfma_f32_16x16x32_fp8_fp8 v[144:147], a[138:139], a[10:11], v[144:147]// 00000000430C: D3F30090 1E42158A
	buffer_load_dwordx4 a[124:127], v67, s[84:87], 0 offen offset:1024// 000000004314: E05C1400 80957C43
	v_mfma_f32_16x16x32_fp8_fp8 v[144:147], a[140:141], a[12:13], v[144:147]// 00000000431C: D3F30090 1E42198C
	v_mfma_f32_16x16x32_fp8_fp8 v[144:147], a[142:143], a[14:15], v[144:147]// 000000004324: D3F30090 1E421D8E
	ds_read_b128 a[72:75], v2 offset:1536                      // 00000000432C: DBFE0600 48000002
	ds_read_b128 a[76:79], v2 offset:1600                      // 000000004334: DBFE0640 4C000002
	v_mfma_f32_16x16x32_fp8_fp8 v[124:127], a[128:129], a[16:17], v[124:127]// 00000000433C: D3F3007C 1DF22180
	v_mfma_f32_16x16x32_fp8_fp8 v[124:127], a[130:131], a[18:19], v[124:127]// 000000004344: D3F3007C 1DF22582
	v_mfma_f32_16x16x32_fp8_fp8 v[124:127], a[132:133], a[20:21], v[124:127]// 00000000434C: D3F3007C 1DF22984
	v_mfma_f32_16x16x32_fp8_fp8 v[124:127], a[134:135], a[22:23], v[124:127]// 000000004354: D3F3007C 1DF22D86
	ds_read_b128 a[80:83], v2 offset:2048                      // 00000000435C: DBFE0800 50000002
	ds_read_b128 a[84:87], v2 offset:2112                      // 000000004364: DBFE0840 54000002
	v_mfma_f32_16x16x32_fp8_fp8 v[148:151], a[136:137], a[16:17], v[148:151]// 00000000436C: D3F30094 1E522188
	v_mfma_f32_16x16x32_fp8_fp8 v[148:151], a[138:139], a[18:19], v[148:151]// 000000004374: D3F30094 1E52258A
	v_mfma_f32_16x16x32_fp8_fp8 v[148:151], a[140:141], a[20:21], v[148:151]// 00000000437C: D3F30094 1E52298C
	v_mfma_f32_16x16x32_fp8_fp8 v[148:151], a[142:143], a[22:23], v[148:151]// 000000004384: D3F30094 1E522D8E
	ds_read_b128 a[88:91], v2 offset:2560                      // 00000000438C: DBFE0A00 58000002
	ds_read_b128 a[92:95], v2 offset:2624                      // 000000004394: DBFE0A40 5C000002
	v_mfma_f32_16x16x32_fp8_fp8 v[128:131], a[128:129], a[24:25], v[128:131]// 00000000439C: D3F30080 1E023180
	v_mfma_f32_16x16x32_fp8_fp8 v[128:131], a[130:131], a[26:27], v[128:131]// 0000000043A4: D3F30080 1E023582
	v_mfma_f32_16x16x32_fp8_fp8 v[128:131], a[132:133], a[28:29], v[128:131]// 0000000043AC: D3F30080 1E023984
	v_mfma_f32_16x16x32_fp8_fp8 v[128:131], a[134:135], a[30:31], v[128:131]// 0000000043B4: D3F30080 1E023D86
	v_mfma_f32_16x16x32_fp8_fp8 v[152:155], a[136:137], a[24:25], v[152:155]// 0000000043BC: D3F30098 1E623188
	v_mfma_f32_16x16x32_fp8_fp8 v[152:155], a[138:139], a[26:27], v[152:155]// 0000000043C4: D3F30098 1E62358A
	v_mfma_f32_16x16x32_fp8_fp8 v[152:155], a[140:141], a[28:29], v[152:155]// 0000000043CC: D3F30098 1E62398C
	v_mfma_f32_16x16x32_fp8_fp8 v[152:155], a[142:143], a[30:31], v[152:155]// 0000000043D4: D3F30098 1E623D8E
	v_mfma_f32_16x16x32_fp8_fp8 v[132:135], a[128:129], a[32:33], v[132:135]// 0000000043DC: D3F30084 1E124180
	v_mfma_f32_16x16x32_fp8_fp8 v[132:135], a[130:131], a[34:35], v[132:135]// 0000000043E4: D3F30084 1E124582
	v_mfma_f32_16x16x32_fp8_fp8 v[132:135], a[132:133], a[36:37], v[132:135]// 0000000043EC: D3F30084 1E124984
	v_mfma_f32_16x16x32_fp8_fp8 v[132:135], a[134:135], a[38:39], v[132:135]// 0000000043F4: D3F30084 1E124D86
	v_mfma_f32_16x16x32_fp8_fp8 v[156:159], a[136:137], a[32:33], v[156:159]// 0000000043FC: D3F3009C 1E724188
	v_mfma_f32_16x16x32_fp8_fp8 v[156:159], a[138:139], a[34:35], v[156:159]// 000000004404: D3F3009C 1E72458A
	v_mfma_f32_16x16x32_fp8_fp8 v[156:159], a[140:141], a[36:37], v[156:159]// 00000000440C: D3F3009C 1E72498C
	v_mfma_f32_16x16x32_fp8_fp8 v[156:159], a[142:143], a[38:39], v[156:159]// 000000004414: D3F3009C 1E724D8E
	v_mfma_f32_16x16x32_fp8_fp8 v[136:139], a[128:129], a[40:41], v[136:139]// 00000000441C: D3F30088 1E225180
	s_add_u32 s60, 0x180, s80                                  // 000000004424: 803C50FF 00000180
	s_cmp_lt_u32 s60, s81                                      // 00000000442C: BF0A513C
	s_cselect_b32 s57, s57, 0                                  // 000000004430: 85398039
	v_mfma_f32_16x16x32_fp8_fp8 v[136:139], a[130:131], a[42:43], v[136:139]// 000000004434: D3F30088 1E225582
	s_add_u32 s60, 0x100, s80                                  // 00000000443C: 803C50FF 00000100
	s_cmp_lt_u32 s60, s81                                      // 000000004444: BF0A513C
	s_cselect_b32 s58, s58, 0                                  // 000000004448: 853A803A
	v_mfma_f32_16x16x32_fp8_fp8 v[136:139], a[132:133], a[44:45], v[136:139]// 00000000444C: D3F30088 1E225984
	s_add_u32 s60, 0x100, s80                                  // 000000004454: 803C50FF 00000100
	s_cmp_lt_u32 s60, s81                                      // 00000000445C: BF0A513C
	s_cselect_b32 s83, s83, 0                                  // 000000004460: 85538053
	v_mfma_f32_16x16x32_fp8_fp8 v[136:139], a[134:135], a[46:47], v[136:139]// 000000004464: D3F30088 1E225D86
	s_add_u32 s24, s58, s24                                    // 00000000446C: 8018183A
	s_addc_u32 s25, 0, s25                                     // 000000004470: 82191980
	v_mfma_f32_16x16x32_fp8_fp8 v[160:163], a[136:137], a[40:41], v[160:163]// 000000004474: D3F300A0 1E825188
	s_add_u32 s20, s57, s20                                    // 00000000447C: 80141439
	s_addc_u32 s21, 0, s21                                     // 000000004480: 82151580
	v_mfma_f32_16x16x32_fp8_fp8 v[160:163], a[138:139], a[42:43], v[160:163]// 000000004484: D3F300A0 1E82558A
	s_add_u32 s84, s83, s84                                    // 00000000448C: 80545453
	s_addc_u32 s85, 0, s85                                     // 000000004490: 82555580
	v_mfma_f32_16x16x32_fp8_fp8 v[160:163], a[140:141], a[44:45], v[160:163]// 000000004494: D3F300A0 1E82598C
	v_mfma_f32_16x16x32_fp8_fp8 v[160:163], a[142:143], a[46:47], v[160:163]// 00000000449C: D3F300A0 1E825D8E
	s_addk_i32 s80, 0x80                                       // 0000000044A4: B7500080
	s_cmp_lt_i32 s80, s81                                      // 0000000044A8: BF045150
	s_cbranch_scc0 label_0A3A                                  // 0000000044AC: BF84038E
	s_waitcnt vmcnt(16) lgkmcnt(0)                             // 0000000044B0: BF8C4070
	v_mfma_f32_16x16x32_fp8_fp8 v[68:71], a[96:97], a[48:49], v[68:71]// 0000000044B4: D3F30044 1D126160
	v_mfma_f32_16x16x32_fp8_fp8 v[68:71], a[98:99], a[50:51], v[68:71]// 0000000044BC: D3F30044 1D126562
	buffer_load_dwordx4 a[128:131], v66, s[24:27], 0 offen     // 0000000044C4: E05C1000 80868042
	v_mfma_f32_16x16x32_fp8_fp8 v[68:71], a[100:101], a[52:53], v[68:71]// 0000000044CC: D3F30044 1D126964
	v_mfma_f32_16x16x32_fp8_fp8 v[68:71], a[102:103], a[54:55], v[68:71]// 0000000044D4: D3F30044 1D126D66
	v_mfma_f32_16x16x32_fp8_fp8 v[92:95], a[104:105], a[48:49], v[92:95]// 0000000044DC: D3F3005C 1D726168
	v_mfma_f32_16x16x32_fp8_fp8 v[92:95], a[106:107], a[50:51], v[92:95]// 0000000044E4: D3F3005C 1D72656A
	buffer_load_dwordx4 a[132:135], v66, s[24:27], 0 offen offset:1024// 0000000044EC: E05C1400 80868442
	v_mfma_f32_16x16x32_fp8_fp8 v[92:95], a[108:109], a[52:53], v[92:95]// 0000000044F4: D3F3005C 1D72696C
	v_mfma_f32_16x16x32_fp8_fp8 v[92:95], a[110:111], a[54:55], v[92:95]// 0000000044FC: D3F3005C 1D726D6E
	v_mfma_f32_16x16x32_fp8_fp8 v[72:75], a[96:97], a[56:57], v[72:75]// 000000004504: D3F30048 1D227160
	v_mfma_f32_16x16x32_fp8_fp8 v[72:75], a[98:99], a[58:59], v[72:75]// 00000000450C: D3F30048 1D227562
	buffer_load_dwordx4 a[136:139], v67, s[24:27], 0 offen     // 000000004514: E05C1000 80868843
	v_mfma_f32_16x16x32_fp8_fp8 v[72:75], a[100:101], a[60:61], v[72:75]// 00000000451C: D3F30048 1D227964
	v_mfma_f32_16x16x32_fp8_fp8 v[72:75], a[102:103], a[62:63], v[72:75]// 000000004524: D3F30048 1D227D66
	v_mfma_f32_16x16x32_fp8_fp8 v[96:99], a[104:105], a[56:57], v[96:99]// 00000000452C: D3F30060 1D827168
	v_mfma_f32_16x16x32_fp8_fp8 v[96:99], a[106:107], a[58:59], v[96:99]// 000000004534: D3F30060 1D82756A
	buffer_load_dwordx4 a[140:143], v67, s[24:27], 0 offen offset:1024// 00000000453C: E05C1400 80868C43
	buffer_load_dword v54, s[20:23], 0 offen lds               // 000000004544: E0511000 80050036
	s_add_u32 m0, 0x100, s50                                   // 00000000454C: 807C32FF 00000100
	v_mfma_f32_16x16x32_fp8_fp8 v[96:99], a[108:109], a[60:61], v[96:99]// 000000004554: D3F30060 1D82796C
	v_mfma_f32_16x16x32_fp8_fp8 v[96:99], a[110:111], a[62:63], v[96:99]// 00000000455C: D3F30060 1D827D6E
	buffer_load_dword v55, s[20:23], 0 offen lds               // 000000004564: E0511000 80050037
	s_add_u32 m0, 0x200, s50                                   // 00000000456C: 807C32FF 00000200
	v_mfma_f32_16x16x32_fp8_fp8 v[76:79], a[96:97], a[64:65], v[76:79]// 000000004574: D3F3004C 1D328160
	v_mfma_f32_16x16x32_fp8_fp8 v[76:79], a[98:99], a[66:67], v[76:79]// 00000000457C: D3F3004C 1D328562
	buffer_load_dword v56, s[20:23], 0 offen lds               // 000000004584: E0511000 80050038
	s_add_u32 m0, 0x300, s50                                   // 00000000458C: 807C32FF 00000300
	v_mfma_f32_16x16x32_fp8_fp8 v[76:79], a[100:101], a[68:69], v[76:79]// 000000004594: D3F3004C 1D328964
	v_mfma_f32_16x16x32_fp8_fp8 v[76:79], a[102:103], a[70:71], v[76:79]// 00000000459C: D3F3004C 1D328D66
	buffer_load_dword v57, s[20:23], 0 offen lds               // 0000000045A4: E0511000 80050039
	s_add_u32 m0, 0x400, s50                                   // 0000000045AC: 807C32FF 00000400
	v_mfma_f32_16x16x32_fp8_fp8 v[100:103], a[104:105], a[64:65], v[100:103]// 0000000045B4: D3F30064 1D928168
	v_mfma_f32_16x16x32_fp8_fp8 v[100:103], a[106:107], a[66:67], v[100:103]// 0000000045BC: D3F30064 1D92856A
	buffer_load_dword v58, s[20:23], 0 offen lds               // 0000000045C4: E0511000 8005003A
	s_add_u32 m0, 0x500, s50                                   // 0000000045CC: 807C32FF 00000500
	v_mfma_f32_16x16x32_fp8_fp8 v[100:103], a[108:109], a[68:69], v[100:103]// 0000000045D4: D3F30064 1D92896C
	v_mfma_f32_16x16x32_fp8_fp8 v[100:103], a[110:111], a[70:71], v[100:103]// 0000000045DC: D3F30064 1D928D6E
	buffer_load_dword v59, s[20:23], 0 offen lds               // 0000000045E4: E0511000 8005003B
	s_add_u32 m0, 0x600, s50                                   // 0000000045EC: 807C32FF 00000600
	v_mfma_f32_16x16x32_fp8_fp8 v[80:83], a[96:97], a[72:73], v[80:83]// 0000000045F4: D3F30050 1D429160
	v_mfma_f32_16x16x32_fp8_fp8 v[80:83], a[98:99], a[74:75], v[80:83]// 0000000045FC: D3F30050 1D429562
	buffer_load_dword v60, s[20:23], 0 offen lds               // 000000004604: E0511000 8005003C
	s_add_u32 m0, 0x700, s50                                   // 00000000460C: 807C32FF 00000700
	v_mfma_f32_16x16x32_fp8_fp8 v[80:83], a[100:101], a[76:77], v[80:83]// 000000004614: D3F30050 1D429964
	v_mfma_f32_16x16x32_fp8_fp8 v[80:83], a[102:103], a[78:79], v[80:83]// 00000000461C: D3F30050 1D429D66
	buffer_load_dword v61, s[20:23], 0 offen lds               // 000000004624: E0511000 8005003D
	s_add_u32 m0, 0x800, s50                                   // 00000000462C: 807C32FF 00000800
	v_mfma_f32_16x16x32_fp8_fp8 v[104:107], a[104:105], a[72:73], v[104:107]// 000000004634: D3F30068 1DA29168
	v_mfma_f32_16x16x32_fp8_fp8 v[104:107], a[106:107], a[74:75], v[104:107]// 00000000463C: D3F30068 1DA2956A
	buffer_load_dword v62, s[20:23], 0 offen lds               // 000000004644: E0511000 8005003E
	s_add_u32 m0, 0x900, s50                                   // 00000000464C: 807C32FF 00000900
	v_mfma_f32_16x16x32_fp8_fp8 v[104:107], a[108:109], a[76:77], v[104:107]// 000000004654: D3F30068 1DA2996C
	v_mfma_f32_16x16x32_fp8_fp8 v[104:107], a[110:111], a[78:79], v[104:107]// 00000000465C: D3F30068 1DA29D6E
	buffer_load_dword v63, s[20:23], 0 offen lds               // 000000004664: E0511000 8005003F
	s_add_u32 m0, 0xa00, s50                                   // 00000000466C: 807C32FF 00000A00
	v_mfma_f32_16x16x32_fp8_fp8 v[84:87], a[96:97], a[80:81], v[84:87]// 000000004674: D3F30054 1D52A160
	v_mfma_f32_16x16x32_fp8_fp8 v[84:87], a[98:99], a[82:83], v[84:87]// 00000000467C: D3F30054 1D52A562
	buffer_load_dword v64, s[20:23], 0 offen lds               // 000000004684: E0511000 80050040
	s_add_u32 m0, 0xb00, s50                                   // 00000000468C: 807C32FF 00000B00
	v_mfma_f32_16x16x32_fp8_fp8 v[84:87], a[100:101], a[84:85], v[84:87]// 000000004694: D3F30054 1D52A964
	v_mfma_f32_16x16x32_fp8_fp8 v[84:87], a[102:103], a[86:87], v[84:87]// 00000000469C: D3F30054 1D52AD66
	buffer_load_dword v65, s[20:23], 0 offen lds               // 0000000046A4: E0511000 80050041
	s_add_u32 m0, 0, s48                                       // 0000000046AC: 807C3080
	v_mfma_f32_16x16x32_fp8_fp8 v[108:111], a[104:105], a[80:81], v[108:111]// 0000000046B0: D3F3006C 1DB2A168
	v_mfma_f32_16x16x32_fp8_fp8 v[108:111], a[106:107], a[82:83], v[108:111]// 0000000046B8: D3F3006C 1DB2A56A
	v_mfma_f32_16x16x32_fp8_fp8 v[108:111], a[108:109], a[84:85], v[108:111]// 0000000046C0: D3F3006C 1DB2A96C
	v_mfma_f32_16x16x32_fp8_fp8 v[108:111], a[110:111], a[86:87], v[108:111]// 0000000046C8: D3F3006C 1DB2AD6E
	v_mfma_f32_16x16x32_fp8_fp8 v[88:91], a[96:97], a[88:89], v[88:91]// 0000000046D0: D3F30058 1D62B160
	v_mfma_f32_16x16x32_fp8_fp8 v[88:91], a[98:99], a[90:91], v[88:91]// 0000000046D8: D3F30058 1D62B562
	v_mfma_f32_16x16x32_fp8_fp8 v[88:91], a[100:101], a[92:93], v[88:91]// 0000000046E0: D3F30058 1D62B964
	v_mfma_f32_16x16x32_fp8_fp8 v[88:91], a[102:103], a[94:95], v[88:91]// 0000000046E8: D3F30058 1D62BD66
	v_mfma_f32_16x16x32_fp8_fp8 v[112:115], a[104:105], a[88:89], v[112:115]// 0000000046F0: D3F30070 1DC2B168
	v_mfma_f32_16x16x32_fp8_fp8 v[112:115], a[106:107], a[90:91], v[112:115]// 0000000046F8: D3F30070 1DC2B56A
	v_mfma_f32_16x16x32_fp8_fp8 v[112:115], a[108:109], a[92:93], v[112:115]// 000000004700: D3F30070 1DC2B96C
	v_mfma_f32_16x16x32_fp8_fp8 v[112:115], a[110:111], a[94:95], v[112:115]// 000000004708: D3F30070 1DC2BD6E
	s_waitcnt vmcnt(16)                                        // 000000004710: BF8C4F70
	s_barrier                                                  // 000000004714: BF8A0000
	v_mfma_f32_16x16x32_fp8_fp8 v[116:119], a[112:113], a[48:49], v[116:119]// 000000004718: D3F30074 1DD26170
	v_mfma_f32_16x16x32_fp8_fp8 v[116:119], a[114:115], a[50:51], v[116:119]// 000000004720: D3F30074 1DD26572
	buffer_load_dwordx4 a[96:99], v66, s[84:87], 0 offen       // 000000004728: E05C1000 80956042
	v_mfma_f32_16x16x32_fp8_fp8 v[116:119], a[116:117], a[52:53], v[116:119]// 000000004730: D3F30074 1DD26974
	v_mfma_f32_16x16x32_fp8_fp8 v[116:119], a[118:119], a[54:55], v[116:119]// 000000004738: D3F30074 1DD26D76
	ds_read_b128 a[0:3], v2 offset:12416                       // 000000004740: DBFE3080 00000002
	ds_read_b128 a[4:7], v2 offset:12480                       // 000000004748: DBFE30C0 04000002
	v_mfma_f32_16x16x32_fp8_fp8 v[140:143], a[120:121], a[48:49], v[140:143]// 000000004750: D3F3008C 1E326178
	v_mfma_f32_16x16x32_fp8_fp8 v[140:143], a[122:123], a[50:51], v[140:143]// 000000004758: D3F3008C 1E32657A
	buffer_load_dwordx4 a[100:103], v66, s[84:87], 0 offen offset:1024// 000000004760: E05C1400 80956442
	v_mfma_f32_16x16x32_fp8_fp8 v[140:143], a[124:125], a[52:53], v[140:143]// 000000004768: D3F3008C 1E32697C
	v_mfma_f32_16x16x32_fp8_fp8 v[140:143], a[126:127], a[54:55], v[140:143]// 000000004770: D3F3008C 1E326D7E
	ds_read_b128 a[8:11], v2 offset:12928                      // 000000004778: DBFE3280 08000002
	ds_read_b128 a[12:15], v2 offset:12992                     // 000000004780: DBFE32C0 0C000002
	v_mfma_f32_16x16x32_fp8_fp8 v[120:123], a[112:113], a[56:57], v[120:123]// 000000004788: D3F30078 1DE27170
	v_mfma_f32_16x16x32_fp8_fp8 v[120:123], a[114:115], a[58:59], v[120:123]// 000000004790: D3F30078 1DE27572
	buffer_load_dwordx4 a[104:107], v67, s[84:87], 0 offen     // 000000004798: E05C1000 80956843
	v_mfma_f32_16x16x32_fp8_fp8 v[120:123], a[116:117], a[60:61], v[120:123]// 0000000047A0: D3F30078 1DE27974
	v_mfma_f32_16x16x32_fp8_fp8 v[120:123], a[118:119], a[62:63], v[120:123]// 0000000047A8: D3F30078 1DE27D76
	ds_read_b128 a[16:19], v2 offset:13440                     // 0000000047B0: DBFE3480 10000002
	ds_read_b128 a[20:23], v2 offset:13504                     // 0000000047B8: DBFE34C0 14000002
	v_mfma_f32_16x16x32_fp8_fp8 v[144:147], a[120:121], a[56:57], v[144:147]// 0000000047C0: D3F30090 1E427178
	v_mfma_f32_16x16x32_fp8_fp8 v[144:147], a[122:123], a[58:59], v[144:147]// 0000000047C8: D3F30090 1E42757A
	buffer_load_dwordx4 a[108:111], v67, s[84:87], 0 offen offset:1024// 0000000047D0: E05C1400 80956C43
	v_mfma_f32_16x16x32_fp8_fp8 v[144:147], a[124:125], a[60:61], v[144:147]// 0000000047D8: D3F30090 1E42797C
	v_mfma_f32_16x16x32_fp8_fp8 v[144:147], a[126:127], a[62:63], v[144:147]// 0000000047E0: D3F30090 1E427D7E
	ds_read_b128 a[24:27], v2 offset:13952                     // 0000000047E8: DBFE3680 18000002
	ds_read_b128 a[28:31], v2 offset:14016                     // 0000000047F0: DBFE36C0 1C000002
	v_mfma_f32_16x16x32_fp8_fp8 v[124:127], a[112:113], a[64:65], v[124:127]// 0000000047F8: D3F3007C 1DF28170
	v_mfma_f32_16x16x32_fp8_fp8 v[124:127], a[114:115], a[66:67], v[124:127]// 000000004800: D3F3007C 1DF28572
	v_mfma_f32_16x16x32_fp8_fp8 v[124:127], a[116:117], a[68:69], v[124:127]// 000000004808: D3F3007C 1DF28974
	v_mfma_f32_16x16x32_fp8_fp8 v[124:127], a[118:119], a[70:71], v[124:127]// 000000004810: D3F3007C 1DF28D76
	ds_read_b128 a[32:35], v2 offset:14464                     // 000000004818: DBFE3880 20000002
	ds_read_b128 a[36:39], v2 offset:14528                     // 000000004820: DBFE38C0 24000002
	v_mfma_f32_16x16x32_fp8_fp8 v[148:151], a[120:121], a[64:65], v[148:151]// 000000004828: D3F30094 1E528178
	v_mfma_f32_16x16x32_fp8_fp8 v[148:151], a[122:123], a[66:67], v[148:151]// 000000004830: D3F30094 1E52857A
	v_mfma_f32_16x16x32_fp8_fp8 v[148:151], a[124:125], a[68:69], v[148:151]// 000000004838: D3F30094 1E52897C
	v_mfma_f32_16x16x32_fp8_fp8 v[148:151], a[126:127], a[70:71], v[148:151]// 000000004840: D3F30094 1E528D7E
	ds_read_b128 a[40:43], v2 offset:14976                     // 000000004848: DBFE3A80 28000002
	ds_read_b128 a[44:47], v2 offset:15040                     // 000000004850: DBFE3AC0 2C000002
	v_mfma_f32_16x16x32_fp8_fp8 v[128:131], a[112:113], a[72:73], v[128:131]// 000000004858: D3F30080 1E029170
	v_mfma_f32_16x16x32_fp8_fp8 v[128:131], a[114:115], a[74:75], v[128:131]// 000000004860: D3F30080 1E029572
	v_mfma_f32_16x16x32_fp8_fp8 v[128:131], a[116:117], a[76:77], v[128:131]// 000000004868: D3F30080 1E029974
	v_mfma_f32_16x16x32_fp8_fp8 v[128:131], a[118:119], a[78:79], v[128:131]// 000000004870: D3F30080 1E029D76
	v_mfma_f32_16x16x32_fp8_fp8 v[152:155], a[120:121], a[72:73], v[152:155]// 000000004878: D3F30098 1E629178
	v_mfma_f32_16x16x32_fp8_fp8 v[152:155], a[122:123], a[74:75], v[152:155]// 000000004880: D3F30098 1E62957A
	v_mfma_f32_16x16x32_fp8_fp8 v[152:155], a[124:125], a[76:77], v[152:155]// 000000004888: D3F30098 1E62997C
	v_mfma_f32_16x16x32_fp8_fp8 v[152:155], a[126:127], a[78:79], v[152:155]// 000000004890: D3F30098 1E629D7E
	v_mfma_f32_16x16x32_fp8_fp8 v[132:135], a[112:113], a[80:81], v[132:135]// 000000004898: D3F30084 1E12A170
	v_mfma_f32_16x16x32_fp8_fp8 v[132:135], a[114:115], a[82:83], v[132:135]// 0000000048A0: D3F30084 1E12A572
	v_mfma_f32_16x16x32_fp8_fp8 v[132:135], a[116:117], a[84:85], v[132:135]// 0000000048A8: D3F30084 1E12A974
	v_mfma_f32_16x16x32_fp8_fp8 v[132:135], a[118:119], a[86:87], v[132:135]// 0000000048B0: D3F30084 1E12AD76
	v_mfma_f32_16x16x32_fp8_fp8 v[156:159], a[120:121], a[80:81], v[156:159]// 0000000048B8: D3F3009C 1E72A178
	v_mfma_f32_16x16x32_fp8_fp8 v[156:159], a[122:123], a[82:83], v[156:159]// 0000000048C0: D3F3009C 1E72A57A
	v_mfma_f32_16x16x32_fp8_fp8 v[156:159], a[124:125], a[84:85], v[156:159]// 0000000048C8: D3F3009C 1E72A97C
	v_mfma_f32_16x16x32_fp8_fp8 v[156:159], a[126:127], a[86:87], v[156:159]// 0000000048D0: D3F3009C 1E72AD7E
	v_mfma_f32_16x16x32_fp8_fp8 v[136:139], a[112:113], a[88:89], v[136:139]// 0000000048D8: D3F30088 1E22B170
	s_add_u32 s60, 0x180, s80                                  // 0000000048E0: 803C50FF 00000180
	s_cmp_lt_u32 s60, s81                                      // 0000000048E8: BF0A513C
	s_cselect_b32 s57, s57, 0                                  // 0000000048EC: 85398039
	v_mfma_f32_16x16x32_fp8_fp8 v[136:139], a[114:115], a[90:91], v[136:139]// 0000000048F0: D3F30088 1E22B572
	s_add_u32 s60, 0x100, s80                                  // 0000000048F8: 803C50FF 00000100
	s_cmp_lt_u32 s60, s81                                      // 000000004900: BF0A513C
	s_cselect_b32 s58, s58, 0                                  // 000000004904: 853A803A
	v_mfma_f32_16x16x32_fp8_fp8 v[136:139], a[116:117], a[92:93], v[136:139]// 000000004908: D3F30088 1E22B974
	s_add_u32 s60, 0x100, s80                                  // 000000004910: 803C50FF 00000100
	s_cmp_lt_u32 s60, s81                                      // 000000004918: BF0A513C
	s_cselect_b32 s83, s83, 0                                  // 00000000491C: 85538053
	v_mfma_f32_16x16x32_fp8_fp8 v[136:139], a[118:119], a[94:95], v[136:139]// 000000004920: D3F30088 1E22BD76
	s_add_u32 s24, s58, s24                                    // 000000004928: 8018183A
	s_addc_u32 s25, 0, s25                                     // 00000000492C: 82191980
	v_mfma_f32_16x16x32_fp8_fp8 v[160:163], a[120:121], a[88:89], v[160:163]// 000000004930: D3F300A0 1E82B178
	s_add_u32 s20, s57, s20                                    // 000000004938: 80141439
	s_addc_u32 s21, 0, s21                                     // 00000000493C: 82151580
	v_mfma_f32_16x16x32_fp8_fp8 v[160:163], a[122:123], a[90:91], v[160:163]// 000000004940: D3F300A0 1E82B57A
	s_add_u32 s84, s83, s84                                    // 000000004948: 80545453
	s_addc_u32 s85, 0, s85                                     // 00000000494C: 82555580
	v_mfma_f32_16x16x32_fp8_fp8 v[160:163], a[124:125], a[92:93], v[160:163]// 000000004950: D3F300A0 1E82B97C
	v_mfma_f32_16x16x32_fp8_fp8 v[160:163], a[126:127], a[94:95], v[160:163]// 000000004958: D3F300A0 1E82BD7E
	s_addk_i32 s80, 0x80                                       // 000000004960: B7500080
	s_cmp_lt_i32 s80, s81                                      // 000000004964: BF045150
	s_cbranch_scc0 label_0A3A                                  // 000000004968: BF84025F
	s_waitcnt vmcnt(16) lgkmcnt(0)                             // 00000000496C: BF8C4070
	v_mfma_f32_16x16x32_fp8_fp8 v[68:71], a[128:129], a[0:1], v[68:71]// 000000004970: D3F30044 1D120180
	v_mfma_f32_16x16x32_fp8_fp8 v[68:71], a[130:131], a[2:3], v[68:71]// 000000004978: D3F30044 1D120582
	buffer_load_dwordx4 a[112:115], v66, s[24:27], 0 offen     // 000000004980: E05C1000 80867042
	v_mfma_f32_16x16x32_fp8_fp8 v[68:71], a[132:133], a[4:5], v[68:71]// 000000004988: D3F30044 1D120984
	v_mfma_f32_16x16x32_fp8_fp8 v[68:71], a[134:135], a[6:7], v[68:71]// 000000004990: D3F30044 1D120D86
	v_mfma_f32_16x16x32_fp8_fp8 v[92:95], a[136:137], a[0:1], v[92:95]// 000000004998: D3F3005C 1D720188
	v_mfma_f32_16x16x32_fp8_fp8 v[92:95], a[138:139], a[2:3], v[92:95]// 0000000049A0: D3F3005C 1D72058A
	buffer_load_dwordx4 a[116:119], v66, s[24:27], 0 offen offset:1024// 0000000049A8: E05C1400 80867442
	v_mfma_f32_16x16x32_fp8_fp8 v[92:95], a[140:141], a[4:5], v[92:95]// 0000000049B0: D3F3005C 1D72098C
	v_mfma_f32_16x16x32_fp8_fp8 v[92:95], a[142:143], a[6:7], v[92:95]// 0000000049B8: D3F3005C 1D720D8E
	v_mfma_f32_16x16x32_fp8_fp8 v[72:75], a[128:129], a[8:9], v[72:75]// 0000000049C0: D3F30048 1D221180
	v_mfma_f32_16x16x32_fp8_fp8 v[72:75], a[130:131], a[10:11], v[72:75]// 0000000049C8: D3F30048 1D221582
	buffer_load_dwordx4 a[120:123], v67, s[24:27], 0 offen     // 0000000049D0: E05C1000 80867843
	v_mfma_f32_16x16x32_fp8_fp8 v[72:75], a[132:133], a[12:13], v[72:75]// 0000000049D8: D3F30048 1D221984
	v_mfma_f32_16x16x32_fp8_fp8 v[72:75], a[134:135], a[14:15], v[72:75]// 0000000049E0: D3F30048 1D221D86
	v_mfma_f32_16x16x32_fp8_fp8 v[96:99], a[136:137], a[8:9], v[96:99]// 0000000049E8: D3F30060 1D821188
	v_mfma_f32_16x16x32_fp8_fp8 v[96:99], a[138:139], a[10:11], v[96:99]// 0000000049F0: D3F30060 1D82158A
	buffer_load_dwordx4 a[124:127], v67, s[24:27], 0 offen offset:1024// 0000000049F8: E05C1400 80867C43
	buffer_load_dword v54, s[20:23], 0 offen lds               // 000000004A00: E0511000 80050036
	s_add_u32 m0, 0x100, s48                                   // 000000004A08: 807C30FF 00000100
	v_mfma_f32_16x16x32_fp8_fp8 v[96:99], a[140:141], a[12:13], v[96:99]// 000000004A10: D3F30060 1D82198C
	v_mfma_f32_16x16x32_fp8_fp8 v[96:99], a[142:143], a[14:15], v[96:99]// 000000004A18: D3F30060 1D821D8E
	buffer_load_dword v55, s[20:23], 0 offen lds               // 000000004A20: E0511000 80050037
	s_add_u32 m0, 0x200, s48                                   // 000000004A28: 807C30FF 00000200
	v_mfma_f32_16x16x32_fp8_fp8 v[76:79], a[128:129], a[16:17], v[76:79]// 000000004A30: D3F3004C 1D322180
	v_mfma_f32_16x16x32_fp8_fp8 v[76:79], a[130:131], a[18:19], v[76:79]// 000000004A38: D3F3004C 1D322582
	buffer_load_dword v56, s[20:23], 0 offen lds               // 000000004A40: E0511000 80050038
	s_add_u32 m0, 0x300, s48                                   // 000000004A48: 807C30FF 00000300
	v_mfma_f32_16x16x32_fp8_fp8 v[76:79], a[132:133], a[20:21], v[76:79]// 000000004A50: D3F3004C 1D322984
	v_mfma_f32_16x16x32_fp8_fp8 v[76:79], a[134:135], a[22:23], v[76:79]// 000000004A58: D3F3004C 1D322D86
	buffer_load_dword v57, s[20:23], 0 offen lds               // 000000004A60: E0511000 80050039
	s_add_u32 m0, 0x400, s48                                   // 000000004A68: 807C30FF 00000400
	v_mfma_f32_16x16x32_fp8_fp8 v[100:103], a[136:137], a[16:17], v[100:103]// 000000004A70: D3F30064 1D922188
	v_mfma_f32_16x16x32_fp8_fp8 v[100:103], a[138:139], a[18:19], v[100:103]// 000000004A78: D3F30064 1D92258A
	buffer_load_dword v58, s[20:23], 0 offen lds               // 000000004A80: E0511000 8005003A
	s_add_u32 m0, 0x500, s48                                   // 000000004A88: 807C30FF 00000500
	v_mfma_f32_16x16x32_fp8_fp8 v[100:103], a[140:141], a[20:21], v[100:103]// 000000004A90: D3F30064 1D92298C
	v_mfma_f32_16x16x32_fp8_fp8 v[100:103], a[142:143], a[22:23], v[100:103]// 000000004A98: D3F30064 1D922D8E
	buffer_load_dword v59, s[20:23], 0 offen lds               // 000000004AA0: E0511000 8005003B
	s_add_u32 m0, 0x600, s48                                   // 000000004AA8: 807C30FF 00000600
	v_mfma_f32_16x16x32_fp8_fp8 v[80:83], a[128:129], a[24:25], v[80:83]// 000000004AB0: D3F30050 1D423180
	v_mfma_f32_16x16x32_fp8_fp8 v[80:83], a[130:131], a[26:27], v[80:83]// 000000004AB8: D3F30050 1D423582
	buffer_load_dword v60, s[20:23], 0 offen lds               // 000000004AC0: E0511000 8005003C
	s_add_u32 m0, 0x700, s48                                   // 000000004AC8: 807C30FF 00000700
	v_mfma_f32_16x16x32_fp8_fp8 v[80:83], a[132:133], a[28:29], v[80:83]// 000000004AD0: D3F30050 1D423984
	v_mfma_f32_16x16x32_fp8_fp8 v[80:83], a[134:135], a[30:31], v[80:83]// 000000004AD8: D3F30050 1D423D86
	buffer_load_dword v61, s[20:23], 0 offen lds               // 000000004AE0: E0511000 8005003D
	s_add_u32 m0, 0x800, s48                                   // 000000004AE8: 807C30FF 00000800
	v_mfma_f32_16x16x32_fp8_fp8 v[104:107], a[136:137], a[24:25], v[104:107]// 000000004AF0: D3F30068 1DA23188
	v_mfma_f32_16x16x32_fp8_fp8 v[104:107], a[138:139], a[26:27], v[104:107]// 000000004AF8: D3F30068 1DA2358A
	buffer_load_dword v62, s[20:23], 0 offen lds               // 000000004B00: E0511000 8005003E
	s_add_u32 m0, 0x900, s48                                   // 000000004B08: 807C30FF 00000900
	v_mfma_f32_16x16x32_fp8_fp8 v[104:107], a[140:141], a[28:29], v[104:107]// 000000004B10: D3F30068 1DA2398C
	v_mfma_f32_16x16x32_fp8_fp8 v[104:107], a[142:143], a[30:31], v[104:107]// 000000004B18: D3F30068 1DA23D8E
	buffer_load_dword v63, s[20:23], 0 offen lds               // 000000004B20: E0511000 8005003F
	s_add_u32 m0, 0xa00, s48                                   // 000000004B28: 807C30FF 00000A00
	v_mfma_f32_16x16x32_fp8_fp8 v[84:87], a[128:129], a[32:33], v[84:87]// 000000004B30: D3F30054 1D524180
	v_mfma_f32_16x16x32_fp8_fp8 v[84:87], a[130:131], a[34:35], v[84:87]// 000000004B38: D3F30054 1D524582
	buffer_load_dword v64, s[20:23], 0 offen lds               // 000000004B40: E0511000 80050040
	s_add_u32 m0, 0xb00, s48                                   // 000000004B48: 807C30FF 00000B00
	v_mfma_f32_16x16x32_fp8_fp8 v[84:87], a[132:133], a[36:37], v[84:87]// 000000004B50: D3F30054 1D524984
	v_mfma_f32_16x16x32_fp8_fp8 v[84:87], a[134:135], a[38:39], v[84:87]// 000000004B58: D3F30054 1D524D86
	buffer_load_dword v65, s[20:23], 0 offen lds               // 000000004B60: E0511000 80050041
	s_add_u32 m0, 0, s49                                       // 000000004B68: 807C3180
	v_mfma_f32_16x16x32_fp8_fp8 v[108:111], a[136:137], a[32:33], v[108:111]// 000000004B6C: D3F3006C 1DB24188
	v_mfma_f32_16x16x32_fp8_fp8 v[108:111], a[138:139], a[34:35], v[108:111]// 000000004B74: D3F3006C 1DB2458A
	v_mfma_f32_16x16x32_fp8_fp8 v[108:111], a[140:141], a[36:37], v[108:111]// 000000004B7C: D3F3006C 1DB2498C
	v_mfma_f32_16x16x32_fp8_fp8 v[108:111], a[142:143], a[38:39], v[108:111]// 000000004B84: D3F3006C 1DB24D8E
	v_mfma_f32_16x16x32_fp8_fp8 v[88:91], a[128:129], a[40:41], v[88:91]// 000000004B8C: D3F30058 1D625180
	v_mfma_f32_16x16x32_fp8_fp8 v[88:91], a[130:131], a[42:43], v[88:91]// 000000004B94: D3F30058 1D625582
	v_mfma_f32_16x16x32_fp8_fp8 v[88:91], a[132:133], a[44:45], v[88:91]// 000000004B9C: D3F30058 1D625984
	v_mfma_f32_16x16x32_fp8_fp8 v[88:91], a[134:135], a[46:47], v[88:91]// 000000004BA4: D3F30058 1D625D86
	v_mfma_f32_16x16x32_fp8_fp8 v[112:115], a[136:137], a[40:41], v[112:115]// 000000004BAC: D3F30070 1DC25188
	v_mfma_f32_16x16x32_fp8_fp8 v[112:115], a[138:139], a[42:43], v[112:115]// 000000004BB4: D3F30070 1DC2558A
	v_mfma_f32_16x16x32_fp8_fp8 v[112:115], a[140:141], a[44:45], v[112:115]// 000000004BBC: D3F30070 1DC2598C
	v_mfma_f32_16x16x32_fp8_fp8 v[112:115], a[142:143], a[46:47], v[112:115]// 000000004BC4: D3F30070 1DC25D8E
	s_waitcnt vmcnt(16)                                        // 000000004BCC: BF8C4F70
	s_barrier                                                  // 000000004BD0: BF8A0000
	v_mfma_f32_16x16x32_fp8_fp8 v[116:119], a[96:97], a[0:1], v[116:119]// 000000004BD4: D3F30074 1DD20160
	v_mfma_f32_16x16x32_fp8_fp8 v[116:119], a[98:99], a[2:3], v[116:119]// 000000004BDC: D3F30074 1DD20562
	buffer_load_dwordx4 a[128:131], v66, s[84:87], 0 offen     // 000000004BE4: E05C1000 80958042
	v_mfma_f32_16x16x32_fp8_fp8 v[116:119], a[100:101], a[4:5], v[116:119]// 000000004BEC: D3F30074 1DD20964
	v_mfma_f32_16x16x32_fp8_fp8 v[116:119], a[102:103], a[6:7], v[116:119]// 000000004BF4: D3F30074 1DD20D66
	ds_read_b128 a[48:51], v2 offset:24832                     // 000000004BFC: DBFE6100 30000002
	ds_read_b128 a[52:55], v2 offset:24896                     // 000000004C04: DBFE6140 34000002
	v_mfma_f32_16x16x32_fp8_fp8 v[140:143], a[104:105], a[0:1], v[140:143]// 000000004C0C: D3F3008C 1E320168
	v_mfma_f32_16x16x32_fp8_fp8 v[140:143], a[106:107], a[2:3], v[140:143]// 000000004C14: D3F3008C 1E32056A
	buffer_load_dwordx4 a[132:135], v66, s[84:87], 0 offen offset:1024// 000000004C1C: E05C1400 80958442
	v_mfma_f32_16x16x32_fp8_fp8 v[140:143], a[108:109], a[4:5], v[140:143]// 000000004C24: D3F3008C 1E32096C
	v_mfma_f32_16x16x32_fp8_fp8 v[140:143], a[110:111], a[6:7], v[140:143]// 000000004C2C: D3F3008C 1E320D6E
	ds_read_b128 a[56:59], v2 offset:25344                     // 000000004C34: DBFE6300 38000002
	ds_read_b128 a[60:63], v2 offset:25408                     // 000000004C3C: DBFE6340 3C000002
	v_mfma_f32_16x16x32_fp8_fp8 v[120:123], a[96:97], a[8:9], v[120:123]// 000000004C44: D3F30078 1DE21160
	v_mfma_f32_16x16x32_fp8_fp8 v[120:123], a[98:99], a[10:11], v[120:123]// 000000004C4C: D3F30078 1DE21562
	buffer_load_dwordx4 a[136:139], v67, s[84:87], 0 offen     // 000000004C54: E05C1000 80958843
	v_mfma_f32_16x16x32_fp8_fp8 v[120:123], a[100:101], a[12:13], v[120:123]// 000000004C5C: D3F30078 1DE21964
	v_mfma_f32_16x16x32_fp8_fp8 v[120:123], a[102:103], a[14:15], v[120:123]// 000000004C64: D3F30078 1DE21D66
	ds_read_b128 a[64:67], v2 offset:25856                     // 000000004C6C: DBFE6500 40000002
	ds_read_b128 a[68:71], v2 offset:25920                     // 000000004C74: DBFE6540 44000002
	v_mfma_f32_16x16x32_fp8_fp8 v[144:147], a[104:105], a[8:9], v[144:147]// 000000004C7C: D3F30090 1E421168
	v_mfma_f32_16x16x32_fp8_fp8 v[144:147], a[106:107], a[10:11], v[144:147]// 000000004C84: D3F30090 1E42156A
	buffer_load_dwordx4 a[140:143], v67, s[84:87], 0 offen offset:1024// 000000004C8C: E05C1400 80958C43
	v_mfma_f32_16x16x32_fp8_fp8 v[144:147], a[108:109], a[12:13], v[144:147]// 000000004C94: D3F30090 1E42196C
	v_mfma_f32_16x16x32_fp8_fp8 v[144:147], a[110:111], a[14:15], v[144:147]// 000000004C9C: D3F30090 1E421D6E
	ds_read_b128 a[72:75], v2 offset:26368                     // 000000004CA4: DBFE6700 48000002
	ds_read_b128 a[76:79], v2 offset:26432                     // 000000004CAC: DBFE6740 4C000002
	v_mfma_f32_16x16x32_fp8_fp8 v[124:127], a[96:97], a[16:17], v[124:127]// 000000004CB4: D3F3007C 1DF22160
	v_mfma_f32_16x16x32_fp8_fp8 v[124:127], a[98:99], a[18:19], v[124:127]// 000000004CBC: D3F3007C 1DF22562
	v_mfma_f32_16x16x32_fp8_fp8 v[124:127], a[100:101], a[20:21], v[124:127]// 000000004CC4: D3F3007C 1DF22964
	v_mfma_f32_16x16x32_fp8_fp8 v[124:127], a[102:103], a[22:23], v[124:127]// 000000004CCC: D3F3007C 1DF22D66
	ds_read_b128 a[80:83], v2 offset:26880                     // 000000004CD4: DBFE6900 50000002
	ds_read_b128 a[84:87], v2 offset:26944                     // 000000004CDC: DBFE6940 54000002
	v_mfma_f32_16x16x32_fp8_fp8 v[148:151], a[104:105], a[16:17], v[148:151]// 000000004CE4: D3F30094 1E522168
	v_mfma_f32_16x16x32_fp8_fp8 v[148:151], a[106:107], a[18:19], v[148:151]// 000000004CEC: D3F30094 1E52256A
	v_mfma_f32_16x16x32_fp8_fp8 v[148:151], a[108:109], a[20:21], v[148:151]// 000000004CF4: D3F30094 1E52296C
	v_mfma_f32_16x16x32_fp8_fp8 v[148:151], a[110:111], a[22:23], v[148:151]// 000000004CFC: D3F30094 1E522D6E
	ds_read_b128 a[88:91], v2 offset:27392                     // 000000004D04: DBFE6B00 58000002
	ds_read_b128 a[92:95], v2 offset:27456                     // 000000004D0C: DBFE6B40 5C000002
	v_mfma_f32_16x16x32_fp8_fp8 v[128:131], a[96:97], a[24:25], v[128:131]// 000000004D14: D3F30080 1E023160
	v_mfma_f32_16x16x32_fp8_fp8 v[128:131], a[98:99], a[26:27], v[128:131]// 000000004D1C: D3F30080 1E023562
	v_mfma_f32_16x16x32_fp8_fp8 v[128:131], a[100:101], a[28:29], v[128:131]// 000000004D24: D3F30080 1E023964
	v_mfma_f32_16x16x32_fp8_fp8 v[128:131], a[102:103], a[30:31], v[128:131]// 000000004D2C: D3F30080 1E023D66
	v_mfma_f32_16x16x32_fp8_fp8 v[152:155], a[104:105], a[24:25], v[152:155]// 000000004D34: D3F30098 1E623168
	v_mfma_f32_16x16x32_fp8_fp8 v[152:155], a[106:107], a[26:27], v[152:155]// 000000004D3C: D3F30098 1E62356A
	v_mfma_f32_16x16x32_fp8_fp8 v[152:155], a[108:109], a[28:29], v[152:155]// 000000004D44: D3F30098 1E62396C
	v_mfma_f32_16x16x32_fp8_fp8 v[152:155], a[110:111], a[30:31], v[152:155]// 000000004D4C: D3F30098 1E623D6E
	v_mfma_f32_16x16x32_fp8_fp8 v[132:135], a[96:97], a[32:33], v[132:135]// 000000004D54: D3F30084 1E124160
	v_mfma_f32_16x16x32_fp8_fp8 v[132:135], a[98:99], a[34:35], v[132:135]// 000000004D5C: D3F30084 1E124562
	v_mfma_f32_16x16x32_fp8_fp8 v[132:135], a[100:101], a[36:37], v[132:135]// 000000004D64: D3F30084 1E124964
	v_mfma_f32_16x16x32_fp8_fp8 v[132:135], a[102:103], a[38:39], v[132:135]// 000000004D6C: D3F30084 1E124D66
	v_mfma_f32_16x16x32_fp8_fp8 v[156:159], a[104:105], a[32:33], v[156:159]// 000000004D74: D3F3009C 1E724168
	v_mfma_f32_16x16x32_fp8_fp8 v[156:159], a[106:107], a[34:35], v[156:159]// 000000004D7C: D3F3009C 1E72456A
	v_mfma_f32_16x16x32_fp8_fp8 v[156:159], a[108:109], a[36:37], v[156:159]// 000000004D84: D3F3009C 1E72496C
	v_mfma_f32_16x16x32_fp8_fp8 v[156:159], a[110:111], a[38:39], v[156:159]// 000000004D8C: D3F3009C 1E724D6E
	v_mfma_f32_16x16x32_fp8_fp8 v[136:139], a[96:97], a[40:41], v[136:139]// 000000004D94: D3F30088 1E225160
	s_add_u32 s60, 0x180, s80                                  // 000000004D9C: 803C50FF 00000180
	s_cmp_lt_u32 s60, s81                                      // 000000004DA4: BF0A513C
	s_cselect_b32 s57, s57, 0                                  // 000000004DA8: 85398039
	v_mfma_f32_16x16x32_fp8_fp8 v[136:139], a[98:99], a[42:43], v[136:139]// 000000004DAC: D3F30088 1E225562
	s_add_u32 s60, 0x100, s80                                  // 000000004DB4: 803C50FF 00000100
	s_cmp_lt_u32 s60, s81                                      // 000000004DBC: BF0A513C
	s_cselect_b32 s58, s58, 0                                  // 000000004DC0: 853A803A
	v_mfma_f32_16x16x32_fp8_fp8 v[136:139], a[100:101], a[44:45], v[136:139]// 000000004DC4: D3F30088 1E225964
	s_add_u32 s60, 0x100, s80                                  // 000000004DCC: 803C50FF 00000100
	s_cmp_lt_u32 s60, s81                                      // 000000004DD4: BF0A513C
	s_cselect_b32 s83, s83, 0                                  // 000000004DD8: 85538053
	v_mfma_f32_16x16x32_fp8_fp8 v[136:139], a[102:103], a[46:47], v[136:139]// 000000004DDC: D3F30088 1E225D66
	s_add_u32 s24, s58, s24                                    // 000000004DE4: 8018183A
	s_addc_u32 s25, 0, s25                                     // 000000004DE8: 82191980
	v_mfma_f32_16x16x32_fp8_fp8 v[160:163], a[104:105], a[40:41], v[160:163]// 000000004DEC: D3F300A0 1E825168
	s_add_u32 s20, s57, s20                                    // 000000004DF4: 80141439
	s_addc_u32 s21, 0, s21                                     // 000000004DF8: 82151580
	v_mfma_f32_16x16x32_fp8_fp8 v[160:163], a[106:107], a[42:43], v[160:163]// 000000004DFC: D3F300A0 1E82556A
	s_add_u32 s84, s83, s84                                    // 000000004E04: 80545453
	s_addc_u32 s85, 0, s85                                     // 000000004E08: 82555580
	v_mfma_f32_16x16x32_fp8_fp8 v[160:163], a[108:109], a[44:45], v[160:163]// 000000004E0C: D3F300A0 1E82596C
	v_mfma_f32_16x16x32_fp8_fp8 v[160:163], a[110:111], a[46:47], v[160:163]// 000000004E14: D3F300A0 1E825D6E
	s_addk_i32 s80, 0x80                                       // 000000004E1C: B7500080
	s_cmp_lt_i32 s80, s81                                      // 000000004E20: BF045150
	s_cbranch_scc0 label_0A3A                                  // 000000004E24: BF840130
	s_waitcnt vmcnt(16) lgkmcnt(0)                             // 000000004E28: BF8C4070
	v_mfma_f32_16x16x32_fp8_fp8 v[68:71], a[112:113], a[48:49], v[68:71]// 000000004E2C: D3F30044 1D126170
	v_mfma_f32_16x16x32_fp8_fp8 v[68:71], a[114:115], a[50:51], v[68:71]// 000000004E34: D3F30044 1D126572
	buffer_load_dwordx4 a[96:99], v66, s[24:27], 0 offen       // 000000004E3C: E05C1000 80866042
	v_mfma_f32_16x16x32_fp8_fp8 v[68:71], a[116:117], a[52:53], v[68:71]// 000000004E44: D3F30044 1D126974
	v_mfma_f32_16x16x32_fp8_fp8 v[68:71], a[118:119], a[54:55], v[68:71]// 000000004E4C: D3F30044 1D126D76
	v_mfma_f32_16x16x32_fp8_fp8 v[92:95], a[120:121], a[48:49], v[92:95]// 000000004E54: D3F3005C 1D726178
	v_mfma_f32_16x16x32_fp8_fp8 v[92:95], a[122:123], a[50:51], v[92:95]// 000000004E5C: D3F3005C 1D72657A
	buffer_load_dwordx4 a[100:103], v66, s[24:27], 0 offen offset:1024// 000000004E64: E05C1400 80866442
	v_mfma_f32_16x16x32_fp8_fp8 v[92:95], a[124:125], a[52:53], v[92:95]// 000000004E6C: D3F3005C 1D72697C
	v_mfma_f32_16x16x32_fp8_fp8 v[92:95], a[126:127], a[54:55], v[92:95]// 000000004E74: D3F3005C 1D726D7E
	v_mfma_f32_16x16x32_fp8_fp8 v[72:75], a[112:113], a[56:57], v[72:75]// 000000004E7C: D3F30048 1D227170
	v_mfma_f32_16x16x32_fp8_fp8 v[72:75], a[114:115], a[58:59], v[72:75]// 000000004E84: D3F30048 1D227572
	buffer_load_dwordx4 a[104:107], v67, s[24:27], 0 offen     // 000000004E8C: E05C1000 80866843
	v_mfma_f32_16x16x32_fp8_fp8 v[72:75], a[116:117], a[60:61], v[72:75]// 000000004E94: D3F30048 1D227974
	v_mfma_f32_16x16x32_fp8_fp8 v[72:75], a[118:119], a[62:63], v[72:75]// 000000004E9C: D3F30048 1D227D76
	v_mfma_f32_16x16x32_fp8_fp8 v[96:99], a[120:121], a[56:57], v[96:99]// 000000004EA4: D3F30060 1D827178
	v_mfma_f32_16x16x32_fp8_fp8 v[96:99], a[122:123], a[58:59], v[96:99]// 000000004EAC: D3F30060 1D82757A
	buffer_load_dwordx4 a[108:111], v67, s[24:27], 0 offen offset:1024// 000000004EB4: E05C1400 80866C43
	buffer_load_dword v54, s[20:23], 0 offen lds               // 000000004EBC: E0511000 80050036
	s_add_u32 m0, 0x100, s49                                   // 000000004EC4: 807C31FF 00000100
	v_mfma_f32_16x16x32_fp8_fp8 v[96:99], a[124:125], a[60:61], v[96:99]// 000000004ECC: D3F30060 1D82797C
	v_mfma_f32_16x16x32_fp8_fp8 v[96:99], a[126:127], a[62:63], v[96:99]// 000000004ED4: D3F30060 1D827D7E
	buffer_load_dword v55, s[20:23], 0 offen lds               // 000000004EDC: E0511000 80050037
	s_add_u32 m0, 0x200, s49                                   // 000000004EE4: 807C31FF 00000200
	v_mfma_f32_16x16x32_fp8_fp8 v[76:79], a[112:113], a[64:65], v[76:79]// 000000004EEC: D3F3004C 1D328170
	v_mfma_f32_16x16x32_fp8_fp8 v[76:79], a[114:115], a[66:67], v[76:79]// 000000004EF4: D3F3004C 1D328572
	buffer_load_dword v56, s[20:23], 0 offen lds               // 000000004EFC: E0511000 80050038
	s_add_u32 m0, 0x300, s49                                   // 000000004F04: 807C31FF 00000300
	v_mfma_f32_16x16x32_fp8_fp8 v[76:79], a[116:117], a[68:69], v[76:79]// 000000004F0C: D3F3004C 1D328974
	v_mfma_f32_16x16x32_fp8_fp8 v[76:79], a[118:119], a[70:71], v[76:79]// 000000004F14: D3F3004C 1D328D76
	buffer_load_dword v57, s[20:23], 0 offen lds               // 000000004F1C: E0511000 80050039
	s_add_u32 m0, 0x400, s49                                   // 000000004F24: 807C31FF 00000400
	v_mfma_f32_16x16x32_fp8_fp8 v[100:103], a[120:121], a[64:65], v[100:103]// 000000004F2C: D3F30064 1D928178
	v_mfma_f32_16x16x32_fp8_fp8 v[100:103], a[122:123], a[66:67], v[100:103]// 000000004F34: D3F30064 1D92857A
	buffer_load_dword v58, s[20:23], 0 offen lds               // 000000004F3C: E0511000 8005003A
	s_add_u32 m0, 0x500, s49                                   // 000000004F44: 807C31FF 00000500
	v_mfma_f32_16x16x32_fp8_fp8 v[100:103], a[124:125], a[68:69], v[100:103]// 000000004F4C: D3F30064 1D92897C
	v_mfma_f32_16x16x32_fp8_fp8 v[100:103], a[126:127], a[70:71], v[100:103]// 000000004F54: D3F30064 1D928D7E
	buffer_load_dword v59, s[20:23], 0 offen lds               // 000000004F5C: E0511000 8005003B
	s_add_u32 m0, 0x600, s49                                   // 000000004F64: 807C31FF 00000600
	v_mfma_f32_16x16x32_fp8_fp8 v[80:83], a[112:113], a[72:73], v[80:83]// 000000004F6C: D3F30050 1D429170
	v_mfma_f32_16x16x32_fp8_fp8 v[80:83], a[114:115], a[74:75], v[80:83]// 000000004F74: D3F30050 1D429572
	buffer_load_dword v60, s[20:23], 0 offen lds               // 000000004F7C: E0511000 8005003C
	s_add_u32 m0, 0x700, s49                                   // 000000004F84: 807C31FF 00000700
	v_mfma_f32_16x16x32_fp8_fp8 v[80:83], a[116:117], a[76:77], v[80:83]// 000000004F8C: D3F30050 1D429974
	v_mfma_f32_16x16x32_fp8_fp8 v[80:83], a[118:119], a[78:79], v[80:83]// 000000004F94: D3F30050 1D429D76
	buffer_load_dword v61, s[20:23], 0 offen lds               // 000000004F9C: E0511000 8005003D
	s_add_u32 m0, 0x800, s49                                   // 000000004FA4: 807C31FF 00000800
	v_mfma_f32_16x16x32_fp8_fp8 v[104:107], a[120:121], a[72:73], v[104:107]// 000000004FAC: D3F30068 1DA29178
	v_mfma_f32_16x16x32_fp8_fp8 v[104:107], a[122:123], a[74:75], v[104:107]// 000000004FB4: D3F30068 1DA2957A
	buffer_load_dword v62, s[20:23], 0 offen lds               // 000000004FBC: E0511000 8005003E
	s_add_u32 m0, 0x900, s49                                   // 000000004FC4: 807C31FF 00000900
	v_mfma_f32_16x16x32_fp8_fp8 v[104:107], a[124:125], a[76:77], v[104:107]// 000000004FCC: D3F30068 1DA2997C
	v_mfma_f32_16x16x32_fp8_fp8 v[104:107], a[126:127], a[78:79], v[104:107]// 000000004FD4: D3F30068 1DA29D7E
	buffer_load_dword v63, s[20:23], 0 offen lds               // 000000004FDC: E0511000 8005003F
	s_add_u32 m0, 0xa00, s49                                   // 000000004FE4: 807C31FF 00000A00
	v_mfma_f32_16x16x32_fp8_fp8 v[84:87], a[112:113], a[80:81], v[84:87]// 000000004FEC: D3F30054 1D52A170
	v_mfma_f32_16x16x32_fp8_fp8 v[84:87], a[114:115], a[82:83], v[84:87]// 000000004FF4: D3F30054 1D52A572
	buffer_load_dword v64, s[20:23], 0 offen lds               // 000000004FFC: E0511000 80050040
	s_add_u32 m0, 0xb00, s49                                   // 000000005004: 807C31FF 00000B00
	v_mfma_f32_16x16x32_fp8_fp8 v[84:87], a[116:117], a[84:85], v[84:87]// 00000000500C: D3F30054 1D52A974
	v_mfma_f32_16x16x32_fp8_fp8 v[84:87], a[118:119], a[86:87], v[84:87]// 000000005014: D3F30054 1D52AD76
	buffer_load_dword v65, s[20:23], 0 offen lds               // 00000000501C: E0511000 80050041
	s_add_u32 m0, 0, s50                                       // 000000005024: 807C3280
	v_mfma_f32_16x16x32_fp8_fp8 v[108:111], a[120:121], a[80:81], v[108:111]// 000000005028: D3F3006C 1DB2A178
	v_mfma_f32_16x16x32_fp8_fp8 v[108:111], a[122:123], a[82:83], v[108:111]// 000000005030: D3F3006C 1DB2A57A
	v_mfma_f32_16x16x32_fp8_fp8 v[108:111], a[124:125], a[84:85], v[108:111]// 000000005038: D3F3006C 1DB2A97C
	v_mfma_f32_16x16x32_fp8_fp8 v[108:111], a[126:127], a[86:87], v[108:111]// 000000005040: D3F3006C 1DB2AD7E
	v_mfma_f32_16x16x32_fp8_fp8 v[88:91], a[112:113], a[88:89], v[88:91]// 000000005048: D3F30058 1D62B170
	v_mfma_f32_16x16x32_fp8_fp8 v[88:91], a[114:115], a[90:91], v[88:91]// 000000005050: D3F30058 1D62B572
	v_mfma_f32_16x16x32_fp8_fp8 v[88:91], a[116:117], a[92:93], v[88:91]// 000000005058: D3F30058 1D62B974
	v_mfma_f32_16x16x32_fp8_fp8 v[88:91], a[118:119], a[94:95], v[88:91]// 000000005060: D3F30058 1D62BD76
	v_mfma_f32_16x16x32_fp8_fp8 v[112:115], a[120:121], a[88:89], v[112:115]// 000000005068: D3F30070 1DC2B178
	v_mfma_f32_16x16x32_fp8_fp8 v[112:115], a[122:123], a[90:91], v[112:115]// 000000005070: D3F30070 1DC2B57A
	v_mfma_f32_16x16x32_fp8_fp8 v[112:115], a[124:125], a[92:93], v[112:115]// 000000005078: D3F30070 1DC2B97C
	v_mfma_f32_16x16x32_fp8_fp8 v[112:115], a[126:127], a[94:95], v[112:115]// 000000005080: D3F30070 1DC2BD7E
	s_waitcnt vmcnt(16)                                        // 000000005088: BF8C4F70
	s_barrier                                                  // 00000000508C: BF8A0000
	v_mfma_f32_16x16x32_fp8_fp8 v[116:119], a[128:129], a[48:49], v[116:119]// 000000005090: D3F30074 1DD26180
	v_mfma_f32_16x16x32_fp8_fp8 v[116:119], a[130:131], a[50:51], v[116:119]// 000000005098: D3F30074 1DD26582
	buffer_load_dwordx4 a[112:115], v66, s[84:87], 0 offen     // 0000000050A0: E05C1000 80957042
	v_mfma_f32_16x16x32_fp8_fp8 v[116:119], a[132:133], a[52:53], v[116:119]// 0000000050A8: D3F30074 1DD26984
	v_mfma_f32_16x16x32_fp8_fp8 v[116:119], a[134:135], a[54:55], v[116:119]// 0000000050B0: D3F30074 1DD26D86
	ds_read_b128 a[0:3], v2                                    // 0000000050B8: DBFE0000 00000002
	ds_read_b128 a[4:7], v2 offset:64                          // 0000000050C0: DBFE0040 04000002
	v_mfma_f32_16x16x32_fp8_fp8 v[140:143], a[136:137], a[48:49], v[140:143]// 0000000050C8: D3F3008C 1E326188
	v_mfma_f32_16x16x32_fp8_fp8 v[140:143], a[138:139], a[50:51], v[140:143]// 0000000050D0: D3F3008C 1E32658A
	buffer_load_dwordx4 a[116:119], v66, s[84:87], 0 offen offset:1024// 0000000050D8: E05C1400 80957442
	v_mfma_f32_16x16x32_fp8_fp8 v[140:143], a[140:141], a[52:53], v[140:143]// 0000000050E0: D3F3008C 1E32698C
	v_mfma_f32_16x16x32_fp8_fp8 v[140:143], a[142:143], a[54:55], v[140:143]// 0000000050E8: D3F3008C 1E326D8E
	ds_read_b128 a[8:11], v2 offset:512                        // 0000000050F0: DBFE0200 08000002
	ds_read_b128 a[12:15], v2 offset:576                       // 0000000050F8: DBFE0240 0C000002
	v_mfma_f32_16x16x32_fp8_fp8 v[120:123], a[128:129], a[56:57], v[120:123]// 000000005100: D3F30078 1DE27180
	v_mfma_f32_16x16x32_fp8_fp8 v[120:123], a[130:131], a[58:59], v[120:123]// 000000005108: D3F30078 1DE27582
	buffer_load_dwordx4 a[120:123], v67, s[84:87], 0 offen     // 000000005110: E05C1000 80957843
	v_mfma_f32_16x16x32_fp8_fp8 v[120:123], a[132:133], a[60:61], v[120:123]// 000000005118: D3F30078 1DE27984
	v_mfma_f32_16x16x32_fp8_fp8 v[120:123], a[134:135], a[62:63], v[120:123]// 000000005120: D3F30078 1DE27D86
	ds_read_b128 a[16:19], v2 offset:1024                      // 000000005128: DBFE0400 10000002
	ds_read_b128 a[20:23], v2 offset:1088                      // 000000005130: DBFE0440 14000002
	v_mfma_f32_16x16x32_fp8_fp8 v[144:147], a[136:137], a[56:57], v[144:147]// 000000005138: D3F30090 1E427188
	v_mfma_f32_16x16x32_fp8_fp8 v[144:147], a[138:139], a[58:59], v[144:147]// 000000005140: D3F30090 1E42758A
	buffer_load_dwordx4 a[124:127], v67, s[84:87], 0 offen offset:1024// 000000005148: E05C1400 80957C43
	v_mfma_f32_16x16x32_fp8_fp8 v[144:147], a[140:141], a[60:61], v[144:147]// 000000005150: D3F30090 1E42798C
	v_mfma_f32_16x16x32_fp8_fp8 v[144:147], a[142:143], a[62:63], v[144:147]// 000000005158: D3F30090 1E427D8E
	ds_read_b128 a[24:27], v2 offset:1536                      // 000000005160: DBFE0600 18000002
	ds_read_b128 a[28:31], v2 offset:1600                      // 000000005168: DBFE0640 1C000002
	v_mfma_f32_16x16x32_fp8_fp8 v[124:127], a[128:129], a[64:65], v[124:127]// 000000005170: D3F3007C 1DF28180
	v_mfma_f32_16x16x32_fp8_fp8 v[124:127], a[130:131], a[66:67], v[124:127]// 000000005178: D3F3007C 1DF28582
	v_mfma_f32_16x16x32_fp8_fp8 v[124:127], a[132:133], a[68:69], v[124:127]// 000000005180: D3F3007C 1DF28984
	v_mfma_f32_16x16x32_fp8_fp8 v[124:127], a[134:135], a[70:71], v[124:127]// 000000005188: D3F3007C 1DF28D86
	ds_read_b128 a[32:35], v2 offset:2048                      // 000000005190: DBFE0800 20000002
	ds_read_b128 a[36:39], v2 offset:2112                      // 000000005198: DBFE0840 24000002
	v_mfma_f32_16x16x32_fp8_fp8 v[148:151], a[136:137], a[64:65], v[148:151]// 0000000051A0: D3F30094 1E528188
	v_mfma_f32_16x16x32_fp8_fp8 v[148:151], a[138:139], a[66:67], v[148:151]// 0000000051A8: D3F30094 1E52858A
	v_mfma_f32_16x16x32_fp8_fp8 v[148:151], a[140:141], a[68:69], v[148:151]// 0000000051B0: D3F30094 1E52898C
	v_mfma_f32_16x16x32_fp8_fp8 v[148:151], a[142:143], a[70:71], v[148:151]// 0000000051B8: D3F30094 1E528D8E
	ds_read_b128 a[40:43], v2 offset:2560                      // 0000000051C0: DBFE0A00 28000002
	ds_read_b128 a[44:47], v2 offset:2624                      // 0000000051C8: DBFE0A40 2C000002
	v_mfma_f32_16x16x32_fp8_fp8 v[128:131], a[128:129], a[72:73], v[128:131]// 0000000051D0: D3F30080 1E029180
	v_mfma_f32_16x16x32_fp8_fp8 v[128:131], a[130:131], a[74:75], v[128:131]// 0000000051D8: D3F30080 1E029582
	v_mfma_f32_16x16x32_fp8_fp8 v[128:131], a[132:133], a[76:77], v[128:131]// 0000000051E0: D3F30080 1E029984
	v_mfma_f32_16x16x32_fp8_fp8 v[128:131], a[134:135], a[78:79], v[128:131]// 0000000051E8: D3F30080 1E029D86
	v_mfma_f32_16x16x32_fp8_fp8 v[152:155], a[136:137], a[72:73], v[152:155]// 0000000051F0: D3F30098 1E629188
	v_mfma_f32_16x16x32_fp8_fp8 v[152:155], a[138:139], a[74:75], v[152:155]// 0000000051F8: D3F30098 1E62958A
	v_mfma_f32_16x16x32_fp8_fp8 v[152:155], a[140:141], a[76:77], v[152:155]// 000000005200: D3F30098 1E62998C
	v_mfma_f32_16x16x32_fp8_fp8 v[152:155], a[142:143], a[78:79], v[152:155]// 000000005208: D3F30098 1E629D8E
	v_mfma_f32_16x16x32_fp8_fp8 v[132:135], a[128:129], a[80:81], v[132:135]// 000000005210: D3F30084 1E12A180
	v_mfma_f32_16x16x32_fp8_fp8 v[132:135], a[130:131], a[82:83], v[132:135]// 000000005218: D3F30084 1E12A582
	v_mfma_f32_16x16x32_fp8_fp8 v[132:135], a[132:133], a[84:85], v[132:135]// 000000005220: D3F30084 1E12A984
	v_mfma_f32_16x16x32_fp8_fp8 v[132:135], a[134:135], a[86:87], v[132:135]// 000000005228: D3F30084 1E12AD86
	v_mfma_f32_16x16x32_fp8_fp8 v[156:159], a[136:137], a[80:81], v[156:159]// 000000005230: D3F3009C 1E72A188
	v_mfma_f32_16x16x32_fp8_fp8 v[156:159], a[138:139], a[82:83], v[156:159]// 000000005238: D3F3009C 1E72A58A
	v_mfma_f32_16x16x32_fp8_fp8 v[156:159], a[140:141], a[84:85], v[156:159]// 000000005240: D3F3009C 1E72A98C
	v_mfma_f32_16x16x32_fp8_fp8 v[156:159], a[142:143], a[86:87], v[156:159]// 000000005248: D3F3009C 1E72AD8E
	v_mfma_f32_16x16x32_fp8_fp8 v[136:139], a[128:129], a[88:89], v[136:139]// 000000005250: D3F30088 1E22B180
	s_add_u32 s60, 0x180, s80                                  // 000000005258: 803C50FF 00000180
	s_cmp_lt_u32 s60, s81                                      // 000000005260: BF0A513C
	s_cselect_b32 s57, s57, 0                                  // 000000005264: 85398039
	v_mfma_f32_16x16x32_fp8_fp8 v[136:139], a[130:131], a[90:91], v[136:139]// 000000005268: D3F30088 1E22B582
	s_add_u32 s60, 0x100, s80                                  // 000000005270: 803C50FF 00000100
	s_cmp_lt_u32 s60, s81                                      // 000000005278: BF0A513C
	s_cselect_b32 s58, s58, 0                                  // 00000000527C: 853A803A
	v_mfma_f32_16x16x32_fp8_fp8 v[136:139], a[132:133], a[92:93], v[136:139]// 000000005280: D3F30088 1E22B984
	s_add_u32 s60, 0x100, s80                                  // 000000005288: 803C50FF 00000100
	s_cmp_lt_u32 s60, s81                                      // 000000005290: BF0A513C
	s_cselect_b32 s83, s83, 0                                  // 000000005294: 85538053
	v_mfma_f32_16x16x32_fp8_fp8 v[136:139], a[134:135], a[94:95], v[136:139]// 000000005298: D3F30088 1E22BD86
	s_add_u32 s24, s58, s24                                    // 0000000052A0: 8018183A
	s_addc_u32 s25, 0, s25                                     // 0000000052A4: 82191980
	v_mfma_f32_16x16x32_fp8_fp8 v[160:163], a[136:137], a[88:89], v[160:163]// 0000000052A8: D3F300A0 1E82B188
	s_add_u32 s20, s57, s20                                    // 0000000052B0: 80141439
	s_addc_u32 s21, 0, s21                                     // 0000000052B4: 82151580
	v_mfma_f32_16x16x32_fp8_fp8 v[160:163], a[138:139], a[90:91], v[160:163]// 0000000052B8: D3F300A0 1E82B58A
	s_add_u32 s84, s83, s84                                    // 0000000052C0: 80545453
	s_addc_u32 s85, 0, s85                                     // 0000000052C4: 82555580
	v_mfma_f32_16x16x32_fp8_fp8 v[160:163], a[140:141], a[92:93], v[160:163]// 0000000052C8: D3F300A0 1E82B98C
	v_mfma_f32_16x16x32_fp8_fp8 v[160:163], a[142:143], a[94:95], v[160:163]// 0000000052D0: D3F300A0 1E82BD8E
	s_addk_i32 s80, 0x80                                       // 0000000052D8: B7500080
	s_cmp_lt_i32 s80, s81                                      // 0000000052DC: BF045150
	s_cbranch_scc0 label_0A3A                                  // 0000000052E0: BF840001
	s_branch label_031F                                        // 0000000052E4: BF82F8E5

00000000000052e8 <label_0A3A>:
	v_mul_f32_dpp v68, v24, v68 row_newbcast:0 row_mask:0xf bank_mask:0xf// 0000000052E8: 0A8888FA FF015018
	v_mul_f32_dpp v69, v24, v69 row_newbcast:1 row_mask:0xf bank_mask:0xf// 0000000052F0: 0A8A8AFA FF015118
	v_mul_f32_dpp v70, v24, v70 row_newbcast:2 row_mask:0xf bank_mask:0xf// 0000000052F8: 0A8C8CFA FF015218
	v_mul_f32_dpp v71, v24, v71 row_newbcast:3 row_mask:0xf bank_mask:0xf// 000000005300: 0A8E8EFA FF015318
	v_mul_f32_dpp v72, v24, v72 row_newbcast:0 row_mask:0xf bank_mask:0xf// 000000005308: 0A9090FA FF015018
	v_mul_f32_dpp v73, v24, v73 row_newbcast:1 row_mask:0xf bank_mask:0xf// 000000005310: 0A9292FA FF015118
	v_mul_f32_dpp v74, v24, v74 row_newbcast:2 row_mask:0xf bank_mask:0xf// 000000005318: 0A9494FA FF015218
	v_mul_f32_dpp v75, v24, v75 row_newbcast:3 row_mask:0xf bank_mask:0xf// 000000005320: 0A9696FA FF015318
	v_mul_f32_dpp v76, v24, v76 row_newbcast:0 row_mask:0xf bank_mask:0xf// 000000005328: 0A9898FA FF015018
	v_mul_f32_dpp v77, v24, v77 row_newbcast:1 row_mask:0xf bank_mask:0xf// 000000005330: 0A9A9AFA FF015118
	v_mul_f32_dpp v78, v24, v78 row_newbcast:2 row_mask:0xf bank_mask:0xf// 000000005338: 0A9C9CFA FF015218
	v_mul_f32_dpp v79, v24, v79 row_newbcast:3 row_mask:0xf bank_mask:0xf// 000000005340: 0A9E9EFA FF015318
	v_mul_f32_dpp v80, v24, v80 row_newbcast:0 row_mask:0xf bank_mask:0xf// 000000005348: 0AA0A0FA FF015018
	v_mul_f32_dpp v81, v24, v81 row_newbcast:1 row_mask:0xf bank_mask:0xf// 000000005350: 0AA2A2FA FF015118
	v_mul_f32_dpp v82, v24, v82 row_newbcast:2 row_mask:0xf bank_mask:0xf// 000000005358: 0AA4A4FA FF015218
	v_mul_f32_dpp v83, v24, v83 row_newbcast:3 row_mask:0xf bank_mask:0xf// 000000005360: 0AA6A6FA FF015318
	v_mul_f32_dpp v84, v24, v84 row_newbcast:0 row_mask:0xf bank_mask:0xf// 000000005368: 0AA8A8FA FF015018
	v_mul_f32_dpp v85, v24, v85 row_newbcast:1 row_mask:0xf bank_mask:0xf// 000000005370: 0AAAAAFA FF015118
	v_mul_f32_dpp v86, v24, v86 row_newbcast:2 row_mask:0xf bank_mask:0xf// 000000005378: 0AACACFA FF015218
	v_mul_f32_dpp v87, v24, v87 row_newbcast:3 row_mask:0xf bank_mask:0xf// 000000005380: 0AAEAEFA FF015318
	v_mul_f32_dpp v88, v24, v88 row_newbcast:0 row_mask:0xf bank_mask:0xf// 000000005388: 0AB0B0FA FF015018
	v_mul_f32_dpp v89, v24, v89 row_newbcast:1 row_mask:0xf bank_mask:0xf// 000000005390: 0AB2B2FA FF015118
	v_mul_f32_dpp v90, v24, v90 row_newbcast:2 row_mask:0xf bank_mask:0xf// 000000005398: 0AB4B4FA FF015218
	v_mul_f32_dpp v91, v24, v91 row_newbcast:3 row_mask:0xf bank_mask:0xf// 0000000053A0: 0AB6B6FA FF015318
	v_mul_f32_dpp v92, v24, v92 row_newbcast:4 row_mask:0xf bank_mask:0xf// 0000000053A8: 0AB8B8FA FF015418
	v_mul_f32_dpp v93, v24, v93 row_newbcast:5 row_mask:0xf bank_mask:0xf// 0000000053B0: 0ABABAFA FF015518
	v_mul_f32_dpp v94, v24, v94 row_newbcast:6 row_mask:0xf bank_mask:0xf// 0000000053B8: 0ABCBCFA FF015618
	v_mul_f32_dpp v95, v24, v95 row_newbcast:7 row_mask:0xf bank_mask:0xf// 0000000053C0: 0ABEBEFA FF015718
	v_mul_f32_dpp v96, v24, v96 row_newbcast:4 row_mask:0xf bank_mask:0xf// 0000000053C8: 0AC0C0FA FF015418
	v_mul_f32_dpp v97, v24, v97 row_newbcast:5 row_mask:0xf bank_mask:0xf// 0000000053D0: 0AC2C2FA FF015518
	v_mul_f32_dpp v98, v24, v98 row_newbcast:6 row_mask:0xf bank_mask:0xf// 0000000053D8: 0AC4C4FA FF015618
	v_mul_f32_dpp v99, v24, v99 row_newbcast:7 row_mask:0xf bank_mask:0xf// 0000000053E0: 0AC6C6FA FF015718
	v_mul_f32_dpp v100, v24, v100 row_newbcast:4 row_mask:0xf bank_mask:0xf// 0000000053E8: 0AC8C8FA FF015418
	v_mul_f32_dpp v101, v24, v101 row_newbcast:5 row_mask:0xf bank_mask:0xf// 0000000053F0: 0ACACAFA FF015518
	v_mul_f32_dpp v102, v24, v102 row_newbcast:6 row_mask:0xf bank_mask:0xf// 0000000053F8: 0ACCCCFA FF015618
	v_mul_f32_dpp v103, v24, v103 row_newbcast:7 row_mask:0xf bank_mask:0xf// 000000005400: 0ACECEFA FF015718
	v_mul_f32_dpp v104, v24, v104 row_newbcast:4 row_mask:0xf bank_mask:0xf// 000000005408: 0AD0D0FA FF015418
	v_mul_f32_dpp v105, v24, v105 row_newbcast:5 row_mask:0xf bank_mask:0xf// 000000005410: 0AD2D2FA FF015518
	v_mul_f32_dpp v106, v24, v106 row_newbcast:6 row_mask:0xf bank_mask:0xf// 000000005418: 0AD4D4FA FF015618
	v_mul_f32_dpp v107, v24, v107 row_newbcast:7 row_mask:0xf bank_mask:0xf// 000000005420: 0AD6D6FA FF015718
	v_mul_f32_dpp v108, v24, v108 row_newbcast:4 row_mask:0xf bank_mask:0xf// 000000005428: 0AD8D8FA FF015418
	v_mul_f32_dpp v109, v24, v109 row_newbcast:5 row_mask:0xf bank_mask:0xf// 000000005430: 0ADADAFA FF015518
	v_mul_f32_dpp v110, v24, v110 row_newbcast:6 row_mask:0xf bank_mask:0xf// 000000005438: 0ADCDCFA FF015618
	v_mul_f32_dpp v111, v24, v111 row_newbcast:7 row_mask:0xf bank_mask:0xf// 000000005440: 0ADEDEFA FF015718
	v_mul_f32_dpp v112, v24, v112 row_newbcast:4 row_mask:0xf bank_mask:0xf// 000000005448: 0AE0E0FA FF015418
	v_mul_f32_dpp v113, v24, v113 row_newbcast:5 row_mask:0xf bank_mask:0xf// 000000005450: 0AE2E2FA FF015518
	v_mul_f32_dpp v114, v24, v114 row_newbcast:6 row_mask:0xf bank_mask:0xf// 000000005458: 0AE4E4FA FF015618
	v_mul_f32_dpp v115, v24, v115 row_newbcast:7 row_mask:0xf bank_mask:0xf// 000000005460: 0AE6E6FA FF015718
	v_mul_f32_dpp v116, v27, v116 row_newbcast:0 row_mask:0xf bank_mask:0xf// 000000005468: 0AE8E8FA FF01501B
	v_mul_f32_dpp v117, v27, v117 row_newbcast:1 row_mask:0xf bank_mask:0xf// 000000005470: 0AEAEAFA FF01511B
	v_mul_f32_dpp v118, v27, v118 row_newbcast:2 row_mask:0xf bank_mask:0xf// 000000005478: 0AECECFA FF01521B
	v_mul_f32_dpp v119, v27, v119 row_newbcast:3 row_mask:0xf bank_mask:0xf// 000000005480: 0AEEEEFA FF01531B
	v_mul_f32_dpp v120, v27, v120 row_newbcast:0 row_mask:0xf bank_mask:0xf// 000000005488: 0AF0F0FA FF01501B
	v_mul_f32_dpp v121, v27, v121 row_newbcast:1 row_mask:0xf bank_mask:0xf// 000000005490: 0AF2F2FA FF01511B
	v_mul_f32_dpp v122, v27, v122 row_newbcast:2 row_mask:0xf bank_mask:0xf// 000000005498: 0AF4F4FA FF01521B
	v_mul_f32_dpp v123, v27, v123 row_newbcast:3 row_mask:0xf bank_mask:0xf// 0000000054A0: 0AF6F6FA FF01531B
	v_mul_f32_dpp v124, v27, v124 row_newbcast:0 row_mask:0xf bank_mask:0xf// 0000000054A8: 0AF8F8FA FF01501B
	v_mul_f32_dpp v125, v27, v125 row_newbcast:1 row_mask:0xf bank_mask:0xf// 0000000054B0: 0AFAFAFA FF01511B
	v_mul_f32_dpp v126, v27, v126 row_newbcast:2 row_mask:0xf bank_mask:0xf// 0000000054B8: 0AFCFCFA FF01521B
	v_mul_f32_dpp v127, v27, v127 row_newbcast:3 row_mask:0xf bank_mask:0xf// 0000000054C0: 0AFEFEFA FF01531B
	v_mul_f32_dpp v128, v27, v128 row_newbcast:0 row_mask:0xf bank_mask:0xf// 0000000054C8: 0B0100FA FF01501B
	v_mul_f32_dpp v129, v27, v129 row_newbcast:1 row_mask:0xf bank_mask:0xf// 0000000054D0: 0B0302FA FF01511B
	v_mul_f32_dpp v130, v27, v130 row_newbcast:2 row_mask:0xf bank_mask:0xf// 0000000054D8: 0B0504FA FF01521B
	v_mul_f32_dpp v131, v27, v131 row_newbcast:3 row_mask:0xf bank_mask:0xf// 0000000054E0: 0B0706FA FF01531B
	v_mul_f32_dpp v132, v27, v132 row_newbcast:0 row_mask:0xf bank_mask:0xf// 0000000054E8: 0B0908FA FF01501B
	v_mul_f32_dpp v133, v27, v133 row_newbcast:1 row_mask:0xf bank_mask:0xf// 0000000054F0: 0B0B0AFA FF01511B
	v_mul_f32_dpp v134, v27, v134 row_newbcast:2 row_mask:0xf bank_mask:0xf// 0000000054F8: 0B0D0CFA FF01521B
	v_mul_f32_dpp v135, v27, v135 row_newbcast:3 row_mask:0xf bank_mask:0xf// 000000005500: 0B0F0EFA FF01531B
	v_mul_f32_dpp v136, v27, v136 row_newbcast:0 row_mask:0xf bank_mask:0xf// 000000005508: 0B1110FA FF01501B
	v_mul_f32_dpp v137, v27, v137 row_newbcast:1 row_mask:0xf bank_mask:0xf// 000000005510: 0B1312FA FF01511B
	v_mul_f32_dpp v138, v27, v138 row_newbcast:2 row_mask:0xf bank_mask:0xf// 000000005518: 0B1514FA FF01521B
	v_mul_f32_dpp v139, v27, v139 row_newbcast:3 row_mask:0xf bank_mask:0xf// 000000005520: 0B1716FA FF01531B
	v_mul_f32_dpp v140, v27, v140 row_newbcast:4 row_mask:0xf bank_mask:0xf// 000000005528: 0B1918FA FF01541B
	v_mul_f32_dpp v141, v27, v141 row_newbcast:5 row_mask:0xf bank_mask:0xf// 000000005530: 0B1B1AFA FF01551B
	v_mul_f32_dpp v142, v27, v142 row_newbcast:6 row_mask:0xf bank_mask:0xf// 000000005538: 0B1D1CFA FF01561B
	v_mul_f32_dpp v143, v27, v143 row_newbcast:7 row_mask:0xf bank_mask:0xf// 000000005540: 0B1F1EFA FF01571B
	v_mul_f32_dpp v144, v27, v144 row_newbcast:4 row_mask:0xf bank_mask:0xf// 000000005548: 0B2120FA FF01541B
	v_mul_f32_dpp v145, v27, v145 row_newbcast:5 row_mask:0xf bank_mask:0xf// 000000005550: 0B2322FA FF01551B
	v_mul_f32_dpp v146, v27, v146 row_newbcast:6 row_mask:0xf bank_mask:0xf// 000000005558: 0B2524FA FF01561B
	v_mul_f32_dpp v147, v27, v147 row_newbcast:7 row_mask:0xf bank_mask:0xf// 000000005560: 0B2726FA FF01571B
	v_mul_f32_dpp v148, v27, v148 row_newbcast:4 row_mask:0xf bank_mask:0xf// 000000005568: 0B2928FA FF01541B
	v_mul_f32_dpp v149, v27, v149 row_newbcast:5 row_mask:0xf bank_mask:0xf// 000000005570: 0B2B2AFA FF01551B
	v_mul_f32_dpp v150, v27, v150 row_newbcast:6 row_mask:0xf bank_mask:0xf// 000000005578: 0B2D2CFA FF01561B
	v_mul_f32_dpp v151, v27, v151 row_newbcast:7 row_mask:0xf bank_mask:0xf// 000000005580: 0B2F2EFA FF01571B
	v_mul_f32_dpp v152, v27, v152 row_newbcast:4 row_mask:0xf bank_mask:0xf// 000000005588: 0B3130FA FF01541B
	v_mul_f32_dpp v153, v27, v153 row_newbcast:5 row_mask:0xf bank_mask:0xf// 000000005590: 0B3332FA FF01551B
	v_mul_f32_dpp v154, v27, v154 row_newbcast:6 row_mask:0xf bank_mask:0xf// 000000005598: 0B3534FA FF01561B
	v_mul_f32_dpp v155, v27, v155 row_newbcast:7 row_mask:0xf bank_mask:0xf// 0000000055A0: 0B3736FA FF01571B
	v_mul_f32_dpp v156, v27, v156 row_newbcast:4 row_mask:0xf bank_mask:0xf// 0000000055A8: 0B3938FA FF01541B
	v_mul_f32_dpp v157, v27, v157 row_newbcast:5 row_mask:0xf bank_mask:0xf// 0000000055B0: 0B3B3AFA FF01551B
	v_mul_f32_dpp v158, v27, v158 row_newbcast:6 row_mask:0xf bank_mask:0xf// 0000000055B8: 0B3D3CFA FF01561B
	v_mul_f32_dpp v159, v27, v159 row_newbcast:7 row_mask:0xf bank_mask:0xf// 0000000055C0: 0B3F3EFA FF01571B
	v_mul_f32_dpp v160, v27, v160 row_newbcast:4 row_mask:0xf bank_mask:0xf// 0000000055C8: 0B4140FA FF01541B
	v_mul_f32_dpp v161, v27, v161 row_newbcast:5 row_mask:0xf bank_mask:0xf// 0000000055D0: 0B4342FA FF01551B
	v_mul_f32_dpp v162, v27, v162 row_newbcast:6 row_mask:0xf bank_mask:0xf// 0000000055D8: 0B4544FA FF01561B
	v_mul_f32_dpp v163, v27, v163 row_newbcast:7 row_mask:0xf bank_mask:0xf// 0000000055E0: 0B4746FA FF01571B
	v_mul_f32_e32 v36, v36, v164                               // 0000000055E8: 0A494924
	v_mov_b32_e32 v4, v36                                      // 0000000055EC: 7E080324
	v_mov_b32_e32 v5, v4                                       // 0000000055F0: 7E0A0304
	v_pk_mul_f32 v[68:69], v[4:5], v[68:69]                    // 0000000055F4: D3B14044 18028904
	v_pk_mul_f32 v[116:117], v[4:5], v[116:117]                // 0000000055FC: D3B14074 1802E904
	v_pk_mul_f32 v[70:71], v[4:5], v[70:71]                    // 000000005604: D3B14046 18028D04
	v_pk_mul_f32 v[118:119], v[4:5], v[118:119]                // 00000000560C: D3B14076 1802ED04
	v_pk_mul_f32 v[92:93], v[4:5], v[92:93]                    // 000000005614: D3B1405C 1802B904
	v_pk_mul_f32 v[140:141], v[4:5], v[140:141]                // 00000000561C: D3B1408C 18031904
	v_pk_mul_f32 v[94:95], v[4:5], v[94:95]                    // 000000005624: D3B1405E 1802BD04
	v_pk_mul_f32 v[142:143], v[4:5], v[142:143]                // 00000000562C: D3B1408E 18031D04
	v_mul_f32_e32 v37, v37, v165                               // 000000005634: 0A4B4B25
	v_mov_b32_e32 v4, v37                                      // 000000005638: 7E080325
	v_mov_b32_e32 v5, v4                                       // 00000000563C: 7E0A0304
	v_pk_mul_f32 v[72:73], v[4:5], v[72:73]                    // 000000005640: D3B14048 18029104
	v_pk_mul_f32 v[120:121], v[4:5], v[120:121]                // 000000005648: D3B14078 1802F104
	v_pk_mul_f32 v[74:75], v[4:5], v[74:75]                    // 000000005650: D3B1404A 18029504
	v_pk_mul_f32 v[122:123], v[4:5], v[122:123]                // 000000005658: D3B1407A 1802F504
	v_pk_mul_f32 v[96:97], v[4:5], v[96:97]                    // 000000005660: D3B14060 1802C104
	v_pk_mul_f32 v[144:145], v[4:5], v[144:145]                // 000000005668: D3B14090 18032104
	v_pk_mul_f32 v[98:99], v[4:5], v[98:99]                    // 000000005670: D3B14062 1802C504
	v_pk_mul_f32 v[146:147], v[4:5], v[146:147]                // 000000005678: D3B14092 18032504
	v_mul_f32_e32 v38, v38, v166                               // 000000005680: 0A4D4D26
	v_mov_b32_e32 v4, v38                                      // 000000005684: 7E080326
	v_mov_b32_e32 v5, v4                                       // 000000005688: 7E0A0304
	v_pk_mul_f32 v[76:77], v[4:5], v[76:77]                    // 00000000568C: D3B1404C 18029904
	v_pk_mul_f32 v[124:125], v[4:5], v[124:125]                // 000000005694: D3B1407C 1802F904
	v_pk_mul_f32 v[78:79], v[4:5], v[78:79]                    // 00000000569C: D3B1404E 18029D04
	v_pk_mul_f32 v[126:127], v[4:5], v[126:127]                // 0000000056A4: D3B1407E 1802FD04
	v_pk_mul_f32 v[100:101], v[4:5], v[100:101]                // 0000000056AC: D3B14064 1802C904
	v_pk_mul_f32 v[148:149], v[4:5], v[148:149]                // 0000000056B4: D3B14094 18032904
	v_pk_mul_f32 v[102:103], v[4:5], v[102:103]                // 0000000056BC: D3B14066 1802CD04
	v_pk_mul_f32 v[150:151], v[4:5], v[150:151]                // 0000000056C4: D3B14096 18032D04
	v_mul_f32_e32 v39, v39, v167                               // 0000000056CC: 0A4F4F27
	v_mov_b32_e32 v4, v39                                      // 0000000056D0: 7E080327
	v_mov_b32_e32 v5, v4                                       // 0000000056D4: 7E0A0304
	v_pk_mul_f32 v[80:81], v[4:5], v[80:81]                    // 0000000056D8: D3B14050 1802A104
	v_pk_mul_f32 v[128:129], v[4:5], v[128:129]                // 0000000056E0: D3B14080 18030104
	v_pk_mul_f32 v[82:83], v[4:5], v[82:83]                    // 0000000056E8: D3B14052 1802A504
	v_pk_mul_f32 v[130:131], v[4:5], v[130:131]                // 0000000056F0: D3B14082 18030504
	v_pk_mul_f32 v[104:105], v[4:5], v[104:105]                // 0000000056F8: D3B14068 1802D104
	v_pk_mul_f32 v[152:153], v[4:5], v[152:153]                // 000000005700: D3B14098 18033104
	v_pk_mul_f32 v[106:107], v[4:5], v[106:107]                // 000000005708: D3B1406A 1802D504
	v_pk_mul_f32 v[154:155], v[4:5], v[154:155]                // 000000005710: D3B1409A 18033504
	v_mul_f32_e32 v40, v40, v168                               // 000000005718: 0A515128
	v_mov_b32_e32 v4, v40                                      // 00000000571C: 7E080328
	v_mov_b32_e32 v5, v4                                       // 000000005720: 7E0A0304
	v_pk_mul_f32 v[84:85], v[4:5], v[84:85]                    // 000000005724: D3B14054 1802A904
	v_pk_mul_f32 v[132:133], v[4:5], v[132:133]                // 00000000572C: D3B14084 18030904
	v_pk_mul_f32 v[86:87], v[4:5], v[86:87]                    // 000000005734: D3B14056 1802AD04
	v_pk_mul_f32 v[134:135], v[4:5], v[134:135]                // 00000000573C: D3B14086 18030D04
	v_pk_mul_f32 v[108:109], v[4:5], v[108:109]                // 000000005744: D3B1406C 1802D904
	v_pk_mul_f32 v[156:157], v[4:5], v[156:157]                // 00000000574C: D3B1409C 18033904
	v_pk_mul_f32 v[110:111], v[4:5], v[110:111]                // 000000005754: D3B1406E 1802DD04
	v_pk_mul_f32 v[158:159], v[4:5], v[158:159]                // 00000000575C: D3B1409E 18033D04
	v_mul_f32_e32 v41, v41, v169                               // 000000005764: 0A535329
	v_mov_b32_e32 v4, v41                                      // 000000005768: 7E080329
	v_mov_b32_e32 v5, v4                                       // 00000000576C: 7E0A0304
	v_pk_mul_f32 v[88:89], v[4:5], v[88:89]                    // 000000005770: D3B14058 1802B104
	v_pk_mul_f32 v[136:137], v[4:5], v[136:137]                // 000000005778: D3B14088 18031104
	v_pk_mul_f32 v[90:91], v[4:5], v[90:91]                    // 000000005780: D3B1405A 1802B504
	v_pk_mul_f32 v[138:139], v[4:5], v[138:139]                // 000000005788: D3B1408A 18031504
	v_pk_mul_f32 v[112:113], v[4:5], v[112:113]                // 000000005790: D3B14070 1802E104
	v_pk_mul_f32 v[160:161], v[4:5], v[160:161]                // 000000005798: D3B140A0 18034104
	v_pk_mul_f32 v[114:115], v[4:5], v[114:115]                // 0000000057A0: D3B14072 1802E504
	v_pk_mul_f32 v[162:163], v[4:5], v[162:163]                // 0000000057A8: D3B140A2 18034504
	s_cmp_eq_u32 s88, 0                                        // 0000000057B0: BF068058
	s_cbranch_scc0 label_127F                                  // 0000000057B4: BF840711
	s_cmp_eq_u32 s89, 0                                        // 0000000057B8: BF068059
	s_cbranch_scc1 label_0D55                                  // 0000000057BC: BF8501E5
	v_mov_b32_e32 v8, v1                                       // 0000000057C0: 7E100301
	v_mov_b32_e32 v9, v1                                       // 0000000057C4: 7E120301
	s_mov_b32 s60, s6                                          // 0000000057C8: BEBC0006
	s_mov_b32 s61, s6                                          // 0000000057CC: BEBD0006
	v_pk_mul_f32 v[4:5], v[68:69], v[68:69]                    // 0000000057D0: D3B14004 18028944
	v_pk_mul_f32 v[6:7], v[70:71], v[70:71]                    // 0000000057D8: D3B14006 18028D46
	v_pk_fma_f32 v[4:5], v[4:5], s[78:79], v[8:9]              // 0000000057E0: D3B04004 1C209D04
	v_pk_fma_f32 v[6:7], v[6:7], s[78:79], v[8:9]              // 0000000057E8: D3B04006 1C209D06
	v_pk_mul_f32 v[4:5], v[4:5], v[68:69]                      // 0000000057F0: D3B14004 18028904
	v_pk_mul_f32 v[6:7], v[6:7], v[70:71]                      // 0000000057F8: D3B14006 18028D06
	v_pk_mul_f32 v[4:5], v[4:5], s[60:61]                      // 000000005800: D3B14004 18007904
	v_pk_mul_f32 v[6:7], v[6:7], s[60:61]                      // 000000005808: D3B14006 18007906
	v_exp_f32_e32 v4, v4                                       // 000000005810: 7E084104
	v_exp_f32_e32 v5, v5                                       // 000000005814: 7E0A4105
	v_exp_f32_e32 v6, v6                                       // 000000005818: 7E0C4106
	v_exp_f32_e32 v7, v7                                       // 00000000581C: 7E0E4107
	v_add_f32_e64 v4, v4, 1.0                                  // 000000005820: D1010004 0001E504
	v_add_f32_e64 v5, v5, 1.0                                  // 000000005828: D1010005 0001E505
	v_add_f32_e64 v6, v6, 1.0                                  // 000000005830: D1010006 0001E506
	v_add_f32_e64 v7, v7, 1.0                                  // 000000005838: D1010007 0001E507
	v_rcp_f32_e32 v4, v4                                       // 000000005840: 7E084504
	v_rcp_f32_e32 v5, v5                                       // 000000005844: 7E0A4505
	v_rcp_f32_e32 v6, v6                                       // 000000005848: 7E0C4506
	v_rcp_f32_e32 v7, v7                                       // 00000000584C: 7E0E4507
	v_mul_f32_e32 v68, v68, v4                                 // 000000005850: 0A880944
	v_mul_f32_e32 v69, v69, v5                                 // 000000005854: 0A8A0B45
	v_mul_f32_e32 v70, v70, v6                                 // 000000005858: 0A8C0D46
	v_mul_f32_e32 v71, v71, v7                                 // 00000000585C: 0A8E0F47
	v_mul_f32_e32 v68, v68, v116                               // 000000005860: 0A88E944
	v_mul_f32_e32 v69, v69, v117                               // 000000005864: 0A8AEB45
	v_mul_f32_e32 v70, v70, v118                               // 000000005868: 0A8CED46
	v_mul_f32_e32 v71, v71, v119                               // 00000000586C: 0A8EEF47
	v_pk_mul_f32 v[4:5], v[72:73], v[72:73]                    // 000000005870: D3B14004 18029148
	v_pk_mul_f32 v[6:7], v[74:75], v[74:75]                    // 000000005878: D3B14006 1802954A
	v_pk_fma_f32 v[4:5], v[4:5], s[78:79], v[8:9]              // 000000005880: D3B04004 1C209D04
	v_pk_fma_f32 v[6:7], v[6:7], s[78:79], v[8:9]              // 000000005888: D3B04006 1C209D06
	v_pk_mul_f32 v[4:5], v[4:5], v[72:73]                      // 000000005890: D3B14004 18029104
	v_pk_mul_f32 v[6:7], v[6:7], v[74:75]                      // 000000005898: D3B14006 18029506
	v_pk_mul_f32 v[4:5], v[4:5], s[60:61]                      // 0000000058A0: D3B14004 18007904
	v_pk_mul_f32 v[6:7], v[6:7], s[60:61]                      // 0000000058A8: D3B14006 18007906
	v_exp_f32_e32 v4, v4                                       // 0000000058B0: 7E084104
	v_exp_f32_e32 v5, v5                                       // 0000000058B4: 7E0A4105
	v_exp_f32_e32 v6, v6                                       // 0000000058B8: 7E0C4106
	v_exp_f32_e32 v7, v7                                       // 0000000058BC: 7E0E4107
	v_add_f32_e64 v4, v4, 1.0                                  // 0000000058C0: D1010004 0001E504
	v_add_f32_e64 v5, v5, 1.0                                  // 0000000058C8: D1010005 0001E505
	v_add_f32_e64 v6, v6, 1.0                                  // 0000000058D0: D1010006 0001E506
	v_add_f32_e64 v7, v7, 1.0                                  // 0000000058D8: D1010007 0001E507
	v_rcp_f32_e32 v4, v4                                       // 0000000058E0: 7E084504
	v_rcp_f32_e32 v5, v5                                       // 0000000058E4: 7E0A4505
	v_rcp_f32_e32 v6, v6                                       // 0000000058E8: 7E0C4506
	v_rcp_f32_e32 v7, v7                                       // 0000000058EC: 7E0E4507
	v_mul_f32_e32 v72, v72, v4                                 // 0000000058F0: 0A900948
	v_mul_f32_e32 v73, v73, v5                                 // 0000000058F4: 0A920B49
	v_mul_f32_e32 v74, v74, v6                                 // 0000000058F8: 0A940D4A
	v_mul_f32_e32 v75, v75, v7                                 // 0000000058FC: 0A960F4B
	v_mul_f32_e32 v72, v72, v120                               // 000000005900: 0A90F148
	v_mul_f32_e32 v73, v73, v121                               // 000000005904: 0A92F349
	v_mul_f32_e32 v74, v74, v122                               // 000000005908: 0A94F54A
	v_mul_f32_e32 v75, v75, v123                               // 00000000590C: 0A96F74B
	v_pk_mul_f32 v[4:5], v[76:77], v[76:77]                    // 000000005910: D3B14004 1802994C
	v_pk_mul_f32 v[6:7], v[78:79], v[78:79]                    // 000000005918: D3B14006 18029D4E
	v_pk_fma_f32 v[4:5], v[4:5], s[78:79], v[8:9]              // 000000005920: D3B04004 1C209D04
	v_pk_fma_f32 v[6:7], v[6:7], s[78:79], v[8:9]              // 000000005928: D3B04006 1C209D06
	v_pk_mul_f32 v[4:5], v[4:5], v[76:77]                      // 000000005930: D3B14004 18029904
	v_pk_mul_f32 v[6:7], v[6:7], v[78:79]                      // 000000005938: D3B14006 18029D06
	v_pk_mul_f32 v[4:5], v[4:5], s[60:61]                      // 000000005940: D3B14004 18007904
	v_pk_mul_f32 v[6:7], v[6:7], s[60:61]                      // 000000005948: D3B14006 18007906
	v_exp_f32_e32 v4, v4                                       // 000000005950: 7E084104
	v_exp_f32_e32 v5, v5                                       // 000000005954: 7E0A4105
	v_exp_f32_e32 v6, v6                                       // 000000005958: 7E0C4106
	v_exp_f32_e32 v7, v7                                       // 00000000595C: 7E0E4107
	v_add_f32_e64 v4, v4, 1.0                                  // 000000005960: D1010004 0001E504
	v_add_f32_e64 v5, v5, 1.0                                  // 000000005968: D1010005 0001E505
	v_add_f32_e64 v6, v6, 1.0                                  // 000000005970: D1010006 0001E506
	v_add_f32_e64 v7, v7, 1.0                                  // 000000005978: D1010007 0001E507
	v_rcp_f32_e32 v4, v4                                       // 000000005980: 7E084504
	v_rcp_f32_e32 v5, v5                                       // 000000005984: 7E0A4505
	v_rcp_f32_e32 v6, v6                                       // 000000005988: 7E0C4506
	v_rcp_f32_e32 v7, v7                                       // 00000000598C: 7E0E4507
	v_mul_f32_e32 v76, v76, v4                                 // 000000005990: 0A98094C
	v_mul_f32_e32 v77, v77, v5                                 // 000000005994: 0A9A0B4D
	v_mul_f32_e32 v78, v78, v6                                 // 000000005998: 0A9C0D4E
	v_mul_f32_e32 v79, v79, v7                                 // 00000000599C: 0A9E0F4F
	v_mul_f32_e32 v76, v76, v124                               // 0000000059A0: 0A98F94C
	v_mul_f32_e32 v77, v77, v125                               // 0000000059A4: 0A9AFB4D
	v_mul_f32_e32 v78, v78, v126                               // 0000000059A8: 0A9CFD4E
	v_mul_f32_e32 v79, v79, v127                               // 0000000059AC: 0A9EFF4F
	v_pk_mul_f32 v[4:5], v[80:81], v[80:81]                    // 0000000059B0: D3B14004 1802A150
	v_pk_mul_f32 v[6:7], v[82:83], v[82:83]                    // 0000000059B8: D3B14006 1802A552
	v_pk_fma_f32 v[4:5], v[4:5], s[78:79], v[8:9]              // 0000000059C0: D3B04004 1C209D04
	v_pk_fma_f32 v[6:7], v[6:7], s[78:79], v[8:9]              // 0000000059C8: D3B04006 1C209D06
	v_pk_mul_f32 v[4:5], v[4:5], v[80:81]                      // 0000000059D0: D3B14004 1802A104
	v_pk_mul_f32 v[6:7], v[6:7], v[82:83]                      // 0000000059D8: D3B14006 1802A506
	v_pk_mul_f32 v[4:5], v[4:5], s[60:61]                      // 0000000059E0: D3B14004 18007904
	v_pk_mul_f32 v[6:7], v[6:7], s[60:61]                      // 0000000059E8: D3B14006 18007906
	v_exp_f32_e32 v4, v4                                       // 0000000059F0: 7E084104
	v_exp_f32_e32 v5, v5                                       // 0000000059F4: 7E0A4105
	v_exp_f32_e32 v6, v6                                       // 0000000059F8: 7E0C4106
	v_exp_f32_e32 v7, v7                                       // 0000000059FC: 7E0E4107
	v_add_f32_e64 v4, v4, 1.0                                  // 000000005A00: D1010004 0001E504
	v_add_f32_e64 v5, v5, 1.0                                  // 000000005A08: D1010005 0001E505
	v_add_f32_e64 v6, v6, 1.0                                  // 000000005A10: D1010006 0001E506
	v_add_f32_e64 v7, v7, 1.0                                  // 000000005A18: D1010007 0001E507
	v_rcp_f32_e32 v4, v4                                       // 000000005A20: 7E084504
	v_rcp_f32_e32 v5, v5                                       // 000000005A24: 7E0A4505
	v_rcp_f32_e32 v6, v6                                       // 000000005A28: 7E0C4506
	v_rcp_f32_e32 v7, v7                                       // 000000005A2C: 7E0E4507
	v_mul_f32_e32 v80, v80, v4                                 // 000000005A30: 0AA00950
	v_mul_f32_e32 v81, v81, v5                                 // 000000005A34: 0AA20B51
	v_mul_f32_e32 v82, v82, v6                                 // 000000005A38: 0AA40D52
	v_mul_f32_e32 v83, v83, v7                                 // 000000005A3C: 0AA60F53
	v_mul_f32_e32 v80, v80, v128                               // 000000005A40: 0AA10150
	v_mul_f32_e32 v81, v81, v129                               // 000000005A44: 0AA30351
	v_mul_f32_e32 v82, v82, v130                               // 000000005A48: 0AA50552
	v_mul_f32_e32 v83, v83, v131                               // 000000005A4C: 0AA70753
	v_pk_mul_f32 v[4:5], v[84:85], v[84:85]                    // 000000005A50: D3B14004 1802A954
	v_pk_mul_f32 v[6:7], v[86:87], v[86:87]                    // 000000005A58: D3B14006 1802AD56
	v_pk_fma_f32 v[4:5], v[4:5], s[78:79], v[8:9]              // 000000005A60: D3B04004 1C209D04
	v_pk_fma_f32 v[6:7], v[6:7], s[78:79], v[8:9]              // 000000005A68: D3B04006 1C209D06
	v_pk_mul_f32 v[4:5], v[4:5], v[84:85]                      // 000000005A70: D3B14004 1802A904
	v_pk_mul_f32 v[6:7], v[6:7], v[86:87]                      // 000000005A78: D3B14006 1802AD06
	v_pk_mul_f32 v[4:5], v[4:5], s[60:61]                      // 000000005A80: D3B14004 18007904
	v_pk_mul_f32 v[6:7], v[6:7], s[60:61]                      // 000000005A88: D3B14006 18007906
	v_exp_f32_e32 v4, v4                                       // 000000005A90: 7E084104
	v_exp_f32_e32 v5, v5                                       // 000000005A94: 7E0A4105
	v_exp_f32_e32 v6, v6                                       // 000000005A98: 7E0C4106
	v_exp_f32_e32 v7, v7                                       // 000000005A9C: 7E0E4107
	v_add_f32_e64 v4, v4, 1.0                                  // 000000005AA0: D1010004 0001E504
	v_add_f32_e64 v5, v5, 1.0                                  // 000000005AA8: D1010005 0001E505
	v_add_f32_e64 v6, v6, 1.0                                  // 000000005AB0: D1010006 0001E506
	v_add_f32_e64 v7, v7, 1.0                                  // 000000005AB8: D1010007 0001E507
	v_rcp_f32_e32 v4, v4                                       // 000000005AC0: 7E084504
	v_rcp_f32_e32 v5, v5                                       // 000000005AC4: 7E0A4505
	v_rcp_f32_e32 v6, v6                                       // 000000005AC8: 7E0C4506
	v_rcp_f32_e32 v7, v7                                       // 000000005ACC: 7E0E4507
	v_mul_f32_e32 v84, v84, v4                                 // 000000005AD0: 0AA80954
	v_mul_f32_e32 v85, v85, v5                                 // 000000005AD4: 0AAA0B55
	v_mul_f32_e32 v86, v86, v6                                 // 000000005AD8: 0AAC0D56
	v_mul_f32_e32 v87, v87, v7                                 // 000000005ADC: 0AAE0F57
	v_mul_f32_e32 v84, v84, v132                               // 000000005AE0: 0AA90954
	v_mul_f32_e32 v85, v85, v133                               // 000000005AE4: 0AAB0B55
	v_mul_f32_e32 v86, v86, v134                               // 000000005AE8: 0AAD0D56
	v_mul_f32_e32 v87, v87, v135                               // 000000005AEC: 0AAF0F57
	v_pk_mul_f32 v[4:5], v[88:89], v[88:89]                    // 000000005AF0: D3B14004 1802B158
	v_pk_mul_f32 v[6:7], v[90:91], v[90:91]                    // 000000005AF8: D3B14006 1802B55A
	v_pk_fma_f32 v[4:5], v[4:5], s[78:79], v[8:9]              // 000000005B00: D3B04004 1C209D04
	v_pk_fma_f32 v[6:7], v[6:7], s[78:79], v[8:9]              // 000000005B08: D3B04006 1C209D06
	v_pk_mul_f32 v[4:5], v[4:5], v[88:89]                      // 000000005B10: D3B14004 1802B104
	v_pk_mul_f32 v[6:7], v[6:7], v[90:91]                      // 000000005B18: D3B14006 1802B506
	v_pk_mul_f32 v[4:5], v[4:5], s[60:61]                      // 000000005B20: D3B14004 18007904
	v_pk_mul_f32 v[6:7], v[6:7], s[60:61]                      // 000000005B28: D3B14006 18007906
	v_exp_f32_e32 v4, v4                                       // 000000005B30: 7E084104
	v_exp_f32_e32 v5, v5                                       // 000000005B34: 7E0A4105
	v_exp_f32_e32 v6, v6                                       // 000000005B38: 7E0C4106
	v_exp_f32_e32 v7, v7                                       // 000000005B3C: 7E0E4107
	v_add_f32_e64 v4, v4, 1.0                                  // 000000005B40: D1010004 0001E504
	v_add_f32_e64 v5, v5, 1.0                                  // 000000005B48: D1010005 0001E505
	v_add_f32_e64 v6, v6, 1.0                                  // 000000005B50: D1010006 0001E506
	v_add_f32_e64 v7, v7, 1.0                                  // 000000005B58: D1010007 0001E507
	v_rcp_f32_e32 v4, v4                                       // 000000005B60: 7E084504
	v_rcp_f32_e32 v5, v5                                       // 000000005B64: 7E0A4505
	v_rcp_f32_e32 v6, v6                                       // 000000005B68: 7E0C4506
	v_rcp_f32_e32 v7, v7                                       // 000000005B6C: 7E0E4507
	v_mul_f32_e32 v88, v88, v4                                 // 000000005B70: 0AB00958
	v_mul_f32_e32 v89, v89, v5                                 // 000000005B74: 0AB20B59
	v_mul_f32_e32 v90, v90, v6                                 // 000000005B78: 0AB40D5A
	v_mul_f32_e32 v91, v91, v7                                 // 000000005B7C: 0AB60F5B
	v_mul_f32_e32 v88, v88, v136                               // 000000005B80: 0AB11158
	v_mul_f32_e32 v89, v89, v137                               // 000000005B84: 0AB31359
	v_mul_f32_e32 v90, v90, v138                               // 000000005B88: 0AB5155A
	v_mul_f32_e32 v91, v91, v139                               // 000000005B8C: 0AB7175B
	v_pk_mul_f32 v[4:5], v[92:93], v[92:93]                    // 000000005B90: D3B14004 1802B95C
	v_pk_mul_f32 v[6:7], v[94:95], v[94:95]                    // 000000005B98: D3B14006 1802BD5E
	v_pk_fma_f32 v[4:5], v[4:5], s[78:79], v[8:9]              // 000000005BA0: D3B04004 1C209D04
	v_pk_fma_f32 v[6:7], v[6:7], s[78:79], v[8:9]              // 000000005BA8: D3B04006 1C209D06
	v_pk_mul_f32 v[4:5], v[4:5], v[92:93]                      // 000000005BB0: D3B14004 1802B904
	v_pk_mul_f32 v[6:7], v[6:7], v[94:95]                      // 000000005BB8: D3B14006 1802BD06
	v_pk_mul_f32 v[4:5], v[4:5], s[60:61]                      // 000000005BC0: D3B14004 18007904
	v_pk_mul_f32 v[6:7], v[6:7], s[60:61]                      // 000000005BC8: D3B14006 18007906
	v_exp_f32_e32 v4, v4                                       // 000000005BD0: 7E084104
	v_exp_f32_e32 v5, v5                                       // 000000005BD4: 7E0A4105
	v_exp_f32_e32 v6, v6                                       // 000000005BD8: 7E0C4106
	v_exp_f32_e32 v7, v7                                       // 000000005BDC: 7E0E4107
	v_add_f32_e64 v4, v4, 1.0                                  // 000000005BE0: D1010004 0001E504
	v_add_f32_e64 v5, v5, 1.0                                  // 000000005BE8: D1010005 0001E505
	v_add_f32_e64 v6, v6, 1.0                                  // 000000005BF0: D1010006 0001E506
	v_add_f32_e64 v7, v7, 1.0                                  // 000000005BF8: D1010007 0001E507
	v_rcp_f32_e32 v4, v4                                       // 000000005C00: 7E084504
	v_rcp_f32_e32 v5, v5                                       // 000000005C04: 7E0A4505
	v_rcp_f32_e32 v6, v6                                       // 000000005C08: 7E0C4506
	v_rcp_f32_e32 v7, v7                                       // 000000005C0C: 7E0E4507
	v_mul_f32_e32 v92, v92, v4                                 // 000000005C10: 0AB8095C
	v_mul_f32_e32 v93, v93, v5                                 // 000000005C14: 0ABA0B5D
	v_mul_f32_e32 v94, v94, v6                                 // 000000005C18: 0ABC0D5E
	v_mul_f32_e32 v95, v95, v7                                 // 000000005C1C: 0ABE0F5F
	v_mul_f32_e32 v92, v92, v140                               // 000000005C20: 0AB9195C
	v_mul_f32_e32 v93, v93, v141                               // 000000005C24: 0ABB1B5D
	v_mul_f32_e32 v94, v94, v142                               // 000000005C28: 0ABD1D5E
	v_mul_f32_e32 v95, v95, v143                               // 000000005C2C: 0ABF1F5F
	v_pk_mul_f32 v[4:5], v[96:97], v[96:97]                    // 000000005C30: D3B14004 1802C160
	v_pk_mul_f32 v[6:7], v[98:99], v[98:99]                    // 000000005C38: D3B14006 1802C562
	v_pk_fma_f32 v[4:5], v[4:5], s[78:79], v[8:9]              // 000000005C40: D3B04004 1C209D04
	v_pk_fma_f32 v[6:7], v[6:7], s[78:79], v[8:9]              // 000000005C48: D3B04006 1C209D06
	v_pk_mul_f32 v[4:5], v[4:5], v[96:97]                      // 000000005C50: D3B14004 1802C104
	v_pk_mul_f32 v[6:7], v[6:7], v[98:99]                      // 000000005C58: D3B14006 1802C506
	v_pk_mul_f32 v[4:5], v[4:5], s[60:61]                      // 000000005C60: D3B14004 18007904
	v_pk_mul_f32 v[6:7], v[6:7], s[60:61]                      // 000000005C68: D3B14006 18007906
	v_exp_f32_e32 v4, v4                                       // 000000005C70: 7E084104
	v_exp_f32_e32 v5, v5                                       // 000000005C74: 7E0A4105
	v_exp_f32_e32 v6, v6                                       // 000000005C78: 7E0C4106
	v_exp_f32_e32 v7, v7                                       // 000000005C7C: 7E0E4107
	v_add_f32_e64 v4, v4, 1.0                                  // 000000005C80: D1010004 0001E504
	v_add_f32_e64 v5, v5, 1.0                                  // 000000005C88: D1010005 0001E505
	v_add_f32_e64 v6, v6, 1.0                                  // 000000005C90: D1010006 0001E506
	v_add_f32_e64 v7, v7, 1.0                                  // 000000005C98: D1010007 0001E507
	v_rcp_f32_e32 v4, v4                                       // 000000005CA0: 7E084504
	v_rcp_f32_e32 v5, v5                                       // 000000005CA4: 7E0A4505
	v_rcp_f32_e32 v6, v6                                       // 000000005CA8: 7E0C4506
	v_rcp_f32_e32 v7, v7                                       // 000000005CAC: 7E0E4507
	v_mul_f32_e32 v96, v96, v4                                 // 000000005CB0: 0AC00960
	v_mul_f32_e32 v97, v97, v5                                 // 000000005CB4: 0AC20B61
	v_mul_f32_e32 v98, v98, v6                                 // 000000005CB8: 0AC40D62
	v_mul_f32_e32 v99, v99, v7                                 // 000000005CBC: 0AC60F63
	v_mul_f32_e32 v96, v96, v144                               // 000000005CC0: 0AC12160
	v_mul_f32_e32 v97, v97, v145                               // 000000005CC4: 0AC32361
	v_mul_f32_e32 v98, v98, v146                               // 000000005CC8: 0AC52562
	v_mul_f32_e32 v99, v99, v147                               // 000000005CCC: 0AC72763
	v_pk_mul_f32 v[4:5], v[100:101], v[100:101]                // 000000005CD0: D3B14004 1802C964
	v_pk_mul_f32 v[6:7], v[102:103], v[102:103]                // 000000005CD8: D3B14006 1802CD66
	v_pk_fma_f32 v[4:5], v[4:5], s[78:79], v[8:9]              // 000000005CE0: D3B04004 1C209D04
	v_pk_fma_f32 v[6:7], v[6:7], s[78:79], v[8:9]              // 000000005CE8: D3B04006 1C209D06
	v_pk_mul_f32 v[4:5], v[4:5], v[100:101]                    // 000000005CF0: D3B14004 1802C904
	v_pk_mul_f32 v[6:7], v[6:7], v[102:103]                    // 000000005CF8: D3B14006 1802CD06
	v_pk_mul_f32 v[4:5], v[4:5], s[60:61]                      // 000000005D00: D3B14004 18007904
	v_pk_mul_f32 v[6:7], v[6:7], s[60:61]                      // 000000005D08: D3B14006 18007906
	v_exp_f32_e32 v4, v4                                       // 000000005D10: 7E084104
	v_exp_f32_e32 v5, v5                                       // 000000005D14: 7E0A4105
	v_exp_f32_e32 v6, v6                                       // 000000005D18: 7E0C4106
	v_exp_f32_e32 v7, v7                                       // 000000005D1C: 7E0E4107
	v_add_f32_e64 v4, v4, 1.0                                  // 000000005D20: D1010004 0001E504
	v_add_f32_e64 v5, v5, 1.0                                  // 000000005D28: D1010005 0001E505
	v_add_f32_e64 v6, v6, 1.0                                  // 000000005D30: D1010006 0001E506
	v_add_f32_e64 v7, v7, 1.0                                  // 000000005D38: D1010007 0001E507
	v_rcp_f32_e32 v4, v4                                       // 000000005D40: 7E084504
	v_rcp_f32_e32 v5, v5                                       // 000000005D44: 7E0A4505
	v_rcp_f32_e32 v6, v6                                       // 000000005D48: 7E0C4506
	v_rcp_f32_e32 v7, v7                                       // 000000005D4C: 7E0E4507
	v_mul_f32_e32 v100, v100, v4                               // 000000005D50: 0AC80964
	v_mul_f32_e32 v101, v101, v5                               // 000000005D54: 0ACA0B65
	v_mul_f32_e32 v102, v102, v6                               // 000000005D58: 0ACC0D66
	v_mul_f32_e32 v103, v103, v7                               // 000000005D5C: 0ACE0F67
	v_mul_f32_e32 v100, v100, v148                             // 000000005D60: 0AC92964
	v_mul_f32_e32 v101, v101, v149                             // 000000005D64: 0ACB2B65
	v_mul_f32_e32 v102, v102, v150                             // 000000005D68: 0ACD2D66
	v_mul_f32_e32 v103, v103, v151                             // 000000005D6C: 0ACF2F67
	v_pk_mul_f32 v[4:5], v[104:105], v[104:105]                // 000000005D70: D3B14004 1802D168
	v_pk_mul_f32 v[6:7], v[106:107], v[106:107]                // 000000005D78: D3B14006 1802D56A
	v_pk_fma_f32 v[4:5], v[4:5], s[78:79], v[8:9]              // 000000005D80: D3B04004 1C209D04
	v_pk_fma_f32 v[6:7], v[6:7], s[78:79], v[8:9]              // 000000005D88: D3B04006 1C209D06
	v_pk_mul_f32 v[4:5], v[4:5], v[104:105]                    // 000000005D90: D3B14004 1802D104
	v_pk_mul_f32 v[6:7], v[6:7], v[106:107]                    // 000000005D98: D3B14006 1802D506
	v_pk_mul_f32 v[4:5], v[4:5], s[60:61]                      // 000000005DA0: D3B14004 18007904
	v_pk_mul_f32 v[6:7], v[6:7], s[60:61]                      // 000000005DA8: D3B14006 18007906
	v_exp_f32_e32 v4, v4                                       // 000000005DB0: 7E084104
	v_exp_f32_e32 v5, v5                                       // 000000005DB4: 7E0A4105
	v_exp_f32_e32 v6, v6                                       // 000000005DB8: 7E0C4106
	v_exp_f32_e32 v7, v7                                       // 000000005DBC: 7E0E4107
	v_add_f32_e64 v4, v4, 1.0                                  // 000000005DC0: D1010004 0001E504
	v_add_f32_e64 v5, v5, 1.0                                  // 000000005DC8: D1010005 0001E505
	v_add_f32_e64 v6, v6, 1.0                                  // 000000005DD0: D1010006 0001E506
	v_add_f32_e64 v7, v7, 1.0                                  // 000000005DD8: D1010007 0001E507
	v_rcp_f32_e32 v4, v4                                       // 000000005DE0: 7E084504
	v_rcp_f32_e32 v5, v5                                       // 000000005DE4: 7E0A4505
	v_rcp_f32_e32 v6, v6                                       // 000000005DE8: 7E0C4506
	v_rcp_f32_e32 v7, v7                                       // 000000005DEC: 7E0E4507
	v_mul_f32_e32 v104, v104, v4                               // 000000005DF0: 0AD00968
	v_mul_f32_e32 v105, v105, v5                               // 000000005DF4: 0AD20B69
	v_mul_f32_e32 v106, v106, v6                               // 000000005DF8: 0AD40D6A
	v_mul_f32_e32 v107, v107, v7                               // 000000005DFC: 0AD60F6B
	v_mul_f32_e32 v104, v104, v152                             // 000000005E00: 0AD13168
	v_mul_f32_e32 v105, v105, v153                             // 000000005E04: 0AD33369
	v_mul_f32_e32 v106, v106, v154                             // 000000005E08: 0AD5356A
	v_mul_f32_e32 v107, v107, v155                             // 000000005E0C: 0AD7376B
	v_pk_mul_f32 v[4:5], v[108:109], v[108:109]                // 000000005E10: D3B14004 1802D96C
	v_pk_mul_f32 v[6:7], v[110:111], v[110:111]                // 000000005E18: D3B14006 1802DD6E
	v_pk_fma_f32 v[4:5], v[4:5], s[78:79], v[8:9]              // 000000005E20: D3B04004 1C209D04
	v_pk_fma_f32 v[6:7], v[6:7], s[78:79], v[8:9]              // 000000005E28: D3B04006 1C209D06
	v_pk_mul_f32 v[4:5], v[4:5], v[108:109]                    // 000000005E30: D3B14004 1802D904
	v_pk_mul_f32 v[6:7], v[6:7], v[110:111]                    // 000000005E38: D3B14006 1802DD06
	v_pk_mul_f32 v[4:5], v[4:5], s[60:61]                      // 000000005E40: D3B14004 18007904
	v_pk_mul_f32 v[6:7], v[6:7], s[60:61]                      // 000000005E48: D3B14006 18007906
	v_exp_f32_e32 v4, v4                                       // 000000005E50: 7E084104
	v_exp_f32_e32 v5, v5                                       // 000000005E54: 7E0A4105
	v_exp_f32_e32 v6, v6                                       // 000000005E58: 7E0C4106
	v_exp_f32_e32 v7, v7                                       // 000000005E5C: 7E0E4107
	v_add_f32_e64 v4, v4, 1.0                                  // 000000005E60: D1010004 0001E504
	v_add_f32_e64 v5, v5, 1.0                                  // 000000005E68: D1010005 0001E505
	v_add_f32_e64 v6, v6, 1.0                                  // 000000005E70: D1010006 0001E506
	v_add_f32_e64 v7, v7, 1.0                                  // 000000005E78: D1010007 0001E507
	v_rcp_f32_e32 v4, v4                                       // 000000005E80: 7E084504
	v_rcp_f32_e32 v5, v5                                       // 000000005E84: 7E0A4505
	v_rcp_f32_e32 v6, v6                                       // 000000005E88: 7E0C4506
	v_rcp_f32_e32 v7, v7                                       // 000000005E8C: 7E0E4507
	v_mul_f32_e32 v108, v108, v4                               // 000000005E90: 0AD8096C
	v_mul_f32_e32 v109, v109, v5                               // 000000005E94: 0ADA0B6D
	v_mul_f32_e32 v110, v110, v6                               // 000000005E98: 0ADC0D6E
	v_mul_f32_e32 v111, v111, v7                               // 000000005E9C: 0ADE0F6F
	v_mul_f32_e32 v108, v108, v156                             // 000000005EA0: 0AD9396C
	v_mul_f32_e32 v109, v109, v157                             // 000000005EA4: 0ADB3B6D
	v_mul_f32_e32 v110, v110, v158                             // 000000005EA8: 0ADD3D6E
	v_mul_f32_e32 v111, v111, v159                             // 000000005EAC: 0ADF3F6F
	v_pk_mul_f32 v[4:5], v[112:113], v[112:113]                // 000000005EB0: D3B14004 1802E170
	v_pk_mul_f32 v[6:7], v[114:115], v[114:115]                // 000000005EB8: D3B14006 1802E572
	v_pk_fma_f32 v[4:5], v[4:5], s[78:79], v[8:9]              // 000000005EC0: D3B04004 1C209D04
	v_pk_fma_f32 v[6:7], v[6:7], s[78:79], v[8:9]              // 000000005EC8: D3B04006 1C209D06
	v_pk_mul_f32 v[4:5], v[4:5], v[112:113]                    // 000000005ED0: D3B14004 1802E104
	v_pk_mul_f32 v[6:7], v[6:7], v[114:115]                    // 000000005ED8: D3B14006 1802E506
	v_pk_mul_f32 v[4:5], v[4:5], s[60:61]                      // 000000005EE0: D3B14004 18007904
	v_pk_mul_f32 v[6:7], v[6:7], s[60:61]                      // 000000005EE8: D3B14006 18007906
	v_exp_f32_e32 v4, v4                                       // 000000005EF0: 7E084104
	v_exp_f32_e32 v5, v5                                       // 000000005EF4: 7E0A4105
	v_exp_f32_e32 v6, v6                                       // 000000005EF8: 7E0C4106
	v_exp_f32_e32 v7, v7                                       // 000000005EFC: 7E0E4107
	v_add_f32_e64 v4, v4, 1.0                                  // 000000005F00: D1010004 0001E504
	v_add_f32_e64 v5, v5, 1.0                                  // 000000005F08: D1010005 0001E505
	v_add_f32_e64 v6, v6, 1.0                                  // 000000005F10: D1010006 0001E506
	v_add_f32_e64 v7, v7, 1.0                                  // 000000005F18: D1010007 0001E507
	v_rcp_f32_e32 v4, v4                                       // 000000005F20: 7E084504
	v_rcp_f32_e32 v5, v5                                       // 000000005F24: 7E0A4505
	v_rcp_f32_e32 v6, v6                                       // 000000005F28: 7E0C4506
	v_rcp_f32_e32 v7, v7                                       // 000000005F2C: 7E0E4507
	v_mul_f32_e32 v112, v112, v4                               // 000000005F30: 0AE00970
	v_mul_f32_e32 v113, v113, v5                               // 000000005F34: 0AE20B71
	v_mul_f32_e32 v114, v114, v6                               // 000000005F38: 0AE40D72
	v_mul_f32_e32 v115, v115, v7                               // 000000005F3C: 0AE60F73
	v_mul_f32_e32 v112, v112, v160                             // 000000005F40: 0AE14170
	v_mul_f32_e32 v113, v113, v161                             // 000000005F44: 0AE34371
	v_mul_f32_e32 v114, v114, v162                             // 000000005F48: 0AE54572
	v_mul_f32_e32 v115, v115, v163                             // 000000005F4C: 0AE74773
	s_branch label_0ED5                                        // 000000005F50: BF820180

0000000000005f54 <label_0D55>:
	v_mul_f32_e64 v4, -v68, s6                                 // 000000005F54: D1050004 20000D44
	v_mul_f32_e64 v5, -v69, s6                                 // 000000005F5C: D1050005 20000D45
	v_mul_f32_e64 v6, -v70, s6                                 // 000000005F64: D1050006 20000D46
	v_mul_f32_e64 v7, -v71, s6                                 // 000000005F6C: D1050007 20000D47
	v_exp_f32_e32 v4, v4                                       // 000000005F74: 7E084104
	v_exp_f32_e32 v5, v5                                       // 000000005F78: 7E0A4105
	v_exp_f32_e32 v6, v6                                       // 000000005F7C: 7E0C4106
	v_exp_f32_e32 v7, v7                                       // 000000005F80: 7E0E4107
	v_add_f32_e64 v4, v4, 1.0                                  // 000000005F84: D1010004 0001E504
	v_add_f32_e64 v5, v5, 1.0                                  // 000000005F8C: D1010005 0001E505
	v_add_f32_e64 v6, v6, 1.0                                  // 000000005F94: D1010006 0001E506
	v_add_f32_e64 v7, v7, 1.0                                  // 000000005F9C: D1010007 0001E507
	v_rcp_f32_e32 v4, v4                                       // 000000005FA4: 7E084504
	v_rcp_f32_e32 v5, v5                                       // 000000005FA8: 7E0A4505
	v_rcp_f32_e32 v6, v6                                       // 000000005FAC: 7E0C4506
	v_rcp_f32_e32 v7, v7                                       // 000000005FB0: 7E0E4507
	v_mul_f32_e32 v68, v68, v4                                 // 000000005FB4: 0A880944
	v_mul_f32_e32 v69, v69, v5                                 // 000000005FB8: 0A8A0B45
	v_mul_f32_e32 v70, v70, v6                                 // 000000005FBC: 0A8C0D46
	v_mul_f32_e32 v71, v71, v7                                 // 000000005FC0: 0A8E0F47
	v_mul_f32_e32 v68, v68, v116                               // 000000005FC4: 0A88E944
	v_mul_f32_e32 v69, v69, v117                               // 000000005FC8: 0A8AEB45
	v_mul_f32_e32 v70, v70, v118                               // 000000005FCC: 0A8CED46
	v_mul_f32_e32 v71, v71, v119                               // 000000005FD0: 0A8EEF47
	v_mul_f32_e64 v4, -v72, s6                                 // 000000005FD4: D1050004 20000D48
	v_mul_f32_e64 v5, -v73, s6                                 // 000000005FDC: D1050005 20000D49
	v_mul_f32_e64 v6, -v74, s6                                 // 000000005FE4: D1050006 20000D4A
	v_mul_f32_e64 v7, -v75, s6                                 // 000000005FEC: D1050007 20000D4B
	v_exp_f32_e32 v4, v4                                       // 000000005FF4: 7E084104
	v_exp_f32_e32 v5, v5                                       // 000000005FF8: 7E0A4105
	v_exp_f32_e32 v6, v6                                       // 000000005FFC: 7E0C4106
	v_exp_f32_e32 v7, v7                                       // 000000006000: 7E0E4107
	v_add_f32_e64 v4, v4, 1.0                                  // 000000006004: D1010004 0001E504
	v_add_f32_e64 v5, v5, 1.0                                  // 00000000600C: D1010005 0001E505
	v_add_f32_e64 v6, v6, 1.0                                  // 000000006014: D1010006 0001E506
	v_add_f32_e64 v7, v7, 1.0                                  // 00000000601C: D1010007 0001E507
	v_rcp_f32_e32 v4, v4                                       // 000000006024: 7E084504
	v_rcp_f32_e32 v5, v5                                       // 000000006028: 7E0A4505
	v_rcp_f32_e32 v6, v6                                       // 00000000602C: 7E0C4506
	v_rcp_f32_e32 v7, v7                                       // 000000006030: 7E0E4507
	v_mul_f32_e32 v72, v72, v4                                 // 000000006034: 0A900948
	v_mul_f32_e32 v73, v73, v5                                 // 000000006038: 0A920B49
	v_mul_f32_e32 v74, v74, v6                                 // 00000000603C: 0A940D4A
	v_mul_f32_e32 v75, v75, v7                                 // 000000006040: 0A960F4B
	v_mul_f32_e32 v72, v72, v120                               // 000000006044: 0A90F148
	v_mul_f32_e32 v73, v73, v121                               // 000000006048: 0A92F349
	v_mul_f32_e32 v74, v74, v122                               // 00000000604C: 0A94F54A
	v_mul_f32_e32 v75, v75, v123                               // 000000006050: 0A96F74B
	v_mul_f32_e64 v4, -v76, s6                                 // 000000006054: D1050004 20000D4C
	v_mul_f32_e64 v5, -v77, s6                                 // 00000000605C: D1050005 20000D4D
	v_mul_f32_e64 v6, -v78, s6                                 // 000000006064: D1050006 20000D4E
	v_mul_f32_e64 v7, -v79, s6                                 // 00000000606C: D1050007 20000D4F
	v_exp_f32_e32 v4, v4                                       // 000000006074: 7E084104
	v_exp_f32_e32 v5, v5                                       // 000000006078: 7E0A4105
	v_exp_f32_e32 v6, v6                                       // 00000000607C: 7E0C4106
	v_exp_f32_e32 v7, v7                                       // 000000006080: 7E0E4107
	v_add_f32_e64 v4, v4, 1.0                                  // 000000006084: D1010004 0001E504
	v_add_f32_e64 v5, v5, 1.0                                  // 00000000608C: D1010005 0001E505
	v_add_f32_e64 v6, v6, 1.0                                  // 000000006094: D1010006 0001E506
	v_add_f32_e64 v7, v7, 1.0                                  // 00000000609C: D1010007 0001E507
	v_rcp_f32_e32 v4, v4                                       // 0000000060A4: 7E084504
	v_rcp_f32_e32 v5, v5                                       // 0000000060A8: 7E0A4505
	v_rcp_f32_e32 v6, v6                                       // 0000000060AC: 7E0C4506
	v_rcp_f32_e32 v7, v7                                       // 0000000060B0: 7E0E4507
	v_mul_f32_e32 v76, v76, v4                                 // 0000000060B4: 0A98094C
	v_mul_f32_e32 v77, v77, v5                                 // 0000000060B8: 0A9A0B4D
	v_mul_f32_e32 v78, v78, v6                                 // 0000000060BC: 0A9C0D4E
	v_mul_f32_e32 v79, v79, v7                                 // 0000000060C0: 0A9E0F4F
	v_mul_f32_e32 v76, v76, v124                               // 0000000060C4: 0A98F94C
	v_mul_f32_e32 v77, v77, v125                               // 0000000060C8: 0A9AFB4D
	v_mul_f32_e32 v78, v78, v126                               // 0000000060CC: 0A9CFD4E
	v_mul_f32_e32 v79, v79, v127                               // 0000000060D0: 0A9EFF4F
	v_mul_f32_e64 v4, -v80, s6                                 // 0000000060D4: D1050004 20000D50
	v_mul_f32_e64 v5, -v81, s6                                 // 0000000060DC: D1050005 20000D51
	v_mul_f32_e64 v6, -v82, s6                                 // 0000000060E4: D1050006 20000D52
	v_mul_f32_e64 v7, -v83, s6                                 // 0000000060EC: D1050007 20000D53
	v_exp_f32_e32 v4, v4                                       // 0000000060F4: 7E084104
	v_exp_f32_e32 v5, v5                                       // 0000000060F8: 7E0A4105
	v_exp_f32_e32 v6, v6                                       // 0000000060FC: 7E0C4106
	v_exp_f32_e32 v7, v7                                       // 000000006100: 7E0E4107
	v_add_f32_e64 v4, v4, 1.0                                  // 000000006104: D1010004 0001E504
	v_add_f32_e64 v5, v5, 1.0                                  // 00000000610C: D1010005 0001E505
	v_add_f32_e64 v6, v6, 1.0                                  // 000000006114: D1010006 0001E506
	v_add_f32_e64 v7, v7, 1.0                                  // 00000000611C: D1010007 0001E507
	v_rcp_f32_e32 v4, v4                                       // 000000006124: 7E084504
	v_rcp_f32_e32 v5, v5                                       // 000000006128: 7E0A4505
	v_rcp_f32_e32 v6, v6                                       // 00000000612C: 7E0C4506
	v_rcp_f32_e32 v7, v7                                       // 000000006130: 7E0E4507
	v_mul_f32_e32 v80, v80, v4                                 // 000000006134: 0AA00950
	v_mul_f32_e32 v81, v81, v5                                 // 000000006138: 0AA20B51
	v_mul_f32_e32 v82, v82, v6                                 // 00000000613C: 0AA40D52
	v_mul_f32_e32 v83, v83, v7                                 // 000000006140: 0AA60F53
	v_mul_f32_e32 v80, v80, v128                               // 000000006144: 0AA10150
	v_mul_f32_e32 v81, v81, v129                               // 000000006148: 0AA30351
	v_mul_f32_e32 v82, v82, v130                               // 00000000614C: 0AA50552
	v_mul_f32_e32 v83, v83, v131                               // 000000006150: 0AA70753
	v_mul_f32_e64 v4, -v84, s6                                 // 000000006154: D1050004 20000D54
	v_mul_f32_e64 v5, -v85, s6                                 // 00000000615C: D1050005 20000D55
	v_mul_f32_e64 v6, -v86, s6                                 // 000000006164: D1050006 20000D56
	v_mul_f32_e64 v7, -v87, s6                                 // 00000000616C: D1050007 20000D57
	v_exp_f32_e32 v4, v4                                       // 000000006174: 7E084104
	v_exp_f32_e32 v5, v5                                       // 000000006178: 7E0A4105
	v_exp_f32_e32 v6, v6                                       // 00000000617C: 7E0C4106
	v_exp_f32_e32 v7, v7                                       // 000000006180: 7E0E4107
	v_add_f32_e64 v4, v4, 1.0                                  // 000000006184: D1010004 0001E504
	v_add_f32_e64 v5, v5, 1.0                                  // 00000000618C: D1010005 0001E505
	v_add_f32_e64 v6, v6, 1.0                                  // 000000006194: D1010006 0001E506
	v_add_f32_e64 v7, v7, 1.0                                  // 00000000619C: D1010007 0001E507
	v_rcp_f32_e32 v4, v4                                       // 0000000061A4: 7E084504
	v_rcp_f32_e32 v5, v5                                       // 0000000061A8: 7E0A4505
	v_rcp_f32_e32 v6, v6                                       // 0000000061AC: 7E0C4506
	v_rcp_f32_e32 v7, v7                                       // 0000000061B0: 7E0E4507
	v_mul_f32_e32 v84, v84, v4                                 // 0000000061B4: 0AA80954
	v_mul_f32_e32 v85, v85, v5                                 // 0000000061B8: 0AAA0B55
	v_mul_f32_e32 v86, v86, v6                                 // 0000000061BC: 0AAC0D56
	v_mul_f32_e32 v87, v87, v7                                 // 0000000061C0: 0AAE0F57
	v_mul_f32_e32 v84, v84, v132                               // 0000000061C4: 0AA90954
	v_mul_f32_e32 v85, v85, v133                               // 0000000061C8: 0AAB0B55
	v_mul_f32_e32 v86, v86, v134                               // 0000000061CC: 0AAD0D56
	v_mul_f32_e32 v87, v87, v135                               // 0000000061D0: 0AAF0F57
	v_mul_f32_e64 v4, -v88, s6                                 // 0000000061D4: D1050004 20000D58
	v_mul_f32_e64 v5, -v89, s6                                 // 0000000061DC: D1050005 20000D59
	v_mul_f32_e64 v6, -v90, s6                                 // 0000000061E4: D1050006 20000D5A
	v_mul_f32_e64 v7, -v91, s6                                 // 0000000061EC: D1050007 20000D5B
	v_exp_f32_e32 v4, v4                                       // 0000000061F4: 7E084104
	v_exp_f32_e32 v5, v5                                       // 0000000061F8: 7E0A4105
	v_exp_f32_e32 v6, v6                                       // 0000000061FC: 7E0C4106
	v_exp_f32_e32 v7, v7                                       // 000000006200: 7E0E4107
	v_add_f32_e64 v4, v4, 1.0                                  // 000000006204: D1010004 0001E504
	v_add_f32_e64 v5, v5, 1.0                                  // 00000000620C: D1010005 0001E505
	v_add_f32_e64 v6, v6, 1.0                                  // 000000006214: D1010006 0001E506
	v_add_f32_e64 v7, v7, 1.0                                  // 00000000621C: D1010007 0001E507
	v_rcp_f32_e32 v4, v4                                       // 000000006224: 7E084504
	v_rcp_f32_e32 v5, v5                                       // 000000006228: 7E0A4505
	v_rcp_f32_e32 v6, v6                                       // 00000000622C: 7E0C4506
	v_rcp_f32_e32 v7, v7                                       // 000000006230: 7E0E4507
	v_mul_f32_e32 v88, v88, v4                                 // 000000006234: 0AB00958
	v_mul_f32_e32 v89, v89, v5                                 // 000000006238: 0AB20B59
	v_mul_f32_e32 v90, v90, v6                                 // 00000000623C: 0AB40D5A
	v_mul_f32_e32 v91, v91, v7                                 // 000000006240: 0AB60F5B
	v_mul_f32_e32 v88, v88, v136                               // 000000006244: 0AB11158
	v_mul_f32_e32 v89, v89, v137                               // 000000006248: 0AB31359
	v_mul_f32_e32 v90, v90, v138                               // 00000000624C: 0AB5155A
	v_mul_f32_e32 v91, v91, v139                               // 000000006250: 0AB7175B
	v_mul_f32_e64 v4, -v92, s6                                 // 000000006254: D1050004 20000D5C
	v_mul_f32_e64 v5, -v93, s6                                 // 00000000625C: D1050005 20000D5D
	v_mul_f32_e64 v6, -v94, s6                                 // 000000006264: D1050006 20000D5E
	v_mul_f32_e64 v7, -v95, s6                                 // 00000000626C: D1050007 20000D5F
	v_exp_f32_e32 v4, v4                                       // 000000006274: 7E084104
	v_exp_f32_e32 v5, v5                                       // 000000006278: 7E0A4105
	v_exp_f32_e32 v6, v6                                       // 00000000627C: 7E0C4106
	v_exp_f32_e32 v7, v7                                       // 000000006280: 7E0E4107
	v_add_f32_e64 v4, v4, 1.0                                  // 000000006284: D1010004 0001E504
	v_add_f32_e64 v5, v5, 1.0                                  // 00000000628C: D1010005 0001E505
	v_add_f32_e64 v6, v6, 1.0                                  // 000000006294: D1010006 0001E506
	v_add_f32_e64 v7, v7, 1.0                                  // 00000000629C: D1010007 0001E507
	v_rcp_f32_e32 v4, v4                                       // 0000000062A4: 7E084504
	v_rcp_f32_e32 v5, v5                                       // 0000000062A8: 7E0A4505
	v_rcp_f32_e32 v6, v6                                       // 0000000062AC: 7E0C4506
	v_rcp_f32_e32 v7, v7                                       // 0000000062B0: 7E0E4507
	v_mul_f32_e32 v92, v92, v4                                 // 0000000062B4: 0AB8095C
	v_mul_f32_e32 v93, v93, v5                                 // 0000000062B8: 0ABA0B5D
	v_mul_f32_e32 v94, v94, v6                                 // 0000000062BC: 0ABC0D5E
	v_mul_f32_e32 v95, v95, v7                                 // 0000000062C0: 0ABE0F5F
	v_mul_f32_e32 v92, v92, v140                               // 0000000062C4: 0AB9195C
	v_mul_f32_e32 v93, v93, v141                               // 0000000062C8: 0ABB1B5D
	v_mul_f32_e32 v94, v94, v142                               // 0000000062CC: 0ABD1D5E
	v_mul_f32_e32 v95, v95, v143                               // 0000000062D0: 0ABF1F5F
	v_mul_f32_e64 v4, -v96, s6                                 // 0000000062D4: D1050004 20000D60
	v_mul_f32_e64 v5, -v97, s6                                 // 0000000062DC: D1050005 20000D61
	v_mul_f32_e64 v6, -v98, s6                                 // 0000000062E4: D1050006 20000D62
	v_mul_f32_e64 v7, -v99, s6                                 // 0000000062EC: D1050007 20000D63
	v_exp_f32_e32 v4, v4                                       // 0000000062F4: 7E084104
	v_exp_f32_e32 v5, v5                                       // 0000000062F8: 7E0A4105
	v_exp_f32_e32 v6, v6                                       // 0000000062FC: 7E0C4106
	v_exp_f32_e32 v7, v7                                       // 000000006300: 7E0E4107
	v_add_f32_e64 v4, v4, 1.0                                  // 000000006304: D1010004 0001E504
	v_add_f32_e64 v5, v5, 1.0                                  // 00000000630C: D1010005 0001E505
	v_add_f32_e64 v6, v6, 1.0                                  // 000000006314: D1010006 0001E506
	v_add_f32_e64 v7, v7, 1.0                                  // 00000000631C: D1010007 0001E507
	v_rcp_f32_e32 v4, v4                                       // 000000006324: 7E084504
	v_rcp_f32_e32 v5, v5                                       // 000000006328: 7E0A4505
	v_rcp_f32_e32 v6, v6                                       // 00000000632C: 7E0C4506
	v_rcp_f32_e32 v7, v7                                       // 000000006330: 7E0E4507
	v_mul_f32_e32 v96, v96, v4                                 // 000000006334: 0AC00960
	v_mul_f32_e32 v97, v97, v5                                 // 000000006338: 0AC20B61
	v_mul_f32_e32 v98, v98, v6                                 // 00000000633C: 0AC40D62
	v_mul_f32_e32 v99, v99, v7                                 // 000000006340: 0AC60F63
	v_mul_f32_e32 v96, v96, v144                               // 000000006344: 0AC12160
	v_mul_f32_e32 v97, v97, v145                               // 000000006348: 0AC32361
	v_mul_f32_e32 v98, v98, v146                               // 00000000634C: 0AC52562
	v_mul_f32_e32 v99, v99, v147                               // 000000006350: 0AC72763
	v_mul_f32_e64 v4, -v100, s6                                // 000000006354: D1050004 20000D64
	v_mul_f32_e64 v5, -v101, s6                                // 00000000635C: D1050005 20000D65
	v_mul_f32_e64 v6, -v102, s6                                // 000000006364: D1050006 20000D66
	v_mul_f32_e64 v7, -v103, s6                                // 00000000636C: D1050007 20000D67
	v_exp_f32_e32 v4, v4                                       // 000000006374: 7E084104
	v_exp_f32_e32 v5, v5                                       // 000000006378: 7E0A4105
	v_exp_f32_e32 v6, v6                                       // 00000000637C: 7E0C4106
	v_exp_f32_e32 v7, v7                                       // 000000006380: 7E0E4107
	v_add_f32_e64 v4, v4, 1.0                                  // 000000006384: D1010004 0001E504
	v_add_f32_e64 v5, v5, 1.0                                  // 00000000638C: D1010005 0001E505
	v_add_f32_e64 v6, v6, 1.0                                  // 000000006394: D1010006 0001E506
	v_add_f32_e64 v7, v7, 1.0                                  // 00000000639C: D1010007 0001E507
	v_rcp_f32_e32 v4, v4                                       // 0000000063A4: 7E084504
	v_rcp_f32_e32 v5, v5                                       // 0000000063A8: 7E0A4505
	v_rcp_f32_e32 v6, v6                                       // 0000000063AC: 7E0C4506
	v_rcp_f32_e32 v7, v7                                       // 0000000063B0: 7E0E4507
	v_mul_f32_e32 v100, v100, v4                               // 0000000063B4: 0AC80964
	v_mul_f32_e32 v101, v101, v5                               // 0000000063B8: 0ACA0B65
	v_mul_f32_e32 v102, v102, v6                               // 0000000063BC: 0ACC0D66
	v_mul_f32_e32 v103, v103, v7                               // 0000000063C0: 0ACE0F67
	v_mul_f32_e32 v100, v100, v148                             // 0000000063C4: 0AC92964
	v_mul_f32_e32 v101, v101, v149                             // 0000000063C8: 0ACB2B65
	v_mul_f32_e32 v102, v102, v150                             // 0000000063CC: 0ACD2D66
	v_mul_f32_e32 v103, v103, v151                             // 0000000063D0: 0ACF2F67
	v_mul_f32_e64 v4, -v104, s6                                // 0000000063D4: D1050004 20000D68
	v_mul_f32_e64 v5, -v105, s6                                // 0000000063DC: D1050005 20000D69
	v_mul_f32_e64 v6, -v106, s6                                // 0000000063E4: D1050006 20000D6A
	v_mul_f32_e64 v7, -v107, s6                                // 0000000063EC: D1050007 20000D6B
	v_exp_f32_e32 v4, v4                                       // 0000000063F4: 7E084104
	v_exp_f32_e32 v5, v5                                       // 0000000063F8: 7E0A4105
	v_exp_f32_e32 v6, v6                                       // 0000000063FC: 7E0C4106
	v_exp_f32_e32 v7, v7                                       // 000000006400: 7E0E4107
	v_add_f32_e64 v4, v4, 1.0                                  // 000000006404: D1010004 0001E504
	v_add_f32_e64 v5, v5, 1.0                                  // 00000000640C: D1010005 0001E505
	v_add_f32_e64 v6, v6, 1.0                                  // 000000006414: D1010006 0001E506
	v_add_f32_e64 v7, v7, 1.0                                  // 00000000641C: D1010007 0001E507
	v_rcp_f32_e32 v4, v4                                       // 000000006424: 7E084504
	v_rcp_f32_e32 v5, v5                                       // 000000006428: 7E0A4505
	v_rcp_f32_e32 v6, v6                                       // 00000000642C: 7E0C4506
	v_rcp_f32_e32 v7, v7                                       // 000000006430: 7E0E4507
	v_mul_f32_e32 v104, v104, v4                               // 000000006434: 0AD00968
	v_mul_f32_e32 v105, v105, v5                               // 000000006438: 0AD20B69
	v_mul_f32_e32 v106, v106, v6                               // 00000000643C: 0AD40D6A
	v_mul_f32_e32 v107, v107, v7                               // 000000006440: 0AD60F6B
	v_mul_f32_e32 v104, v104, v152                             // 000000006444: 0AD13168
	v_mul_f32_e32 v105, v105, v153                             // 000000006448: 0AD33369
	v_mul_f32_e32 v106, v106, v154                             // 00000000644C: 0AD5356A
	v_mul_f32_e32 v107, v107, v155                             // 000000006450: 0AD7376B
	v_mul_f32_e64 v4, -v108, s6                                // 000000006454: D1050004 20000D6C
	v_mul_f32_e64 v5, -v109, s6                                // 00000000645C: D1050005 20000D6D
	v_mul_f32_e64 v6, -v110, s6                                // 000000006464: D1050006 20000D6E
	v_mul_f32_e64 v7, -v111, s6                                // 00000000646C: D1050007 20000D6F
	v_exp_f32_e32 v4, v4                                       // 000000006474: 7E084104
	v_exp_f32_e32 v5, v5                                       // 000000006478: 7E0A4105
	v_exp_f32_e32 v6, v6                                       // 00000000647C: 7E0C4106
	v_exp_f32_e32 v7, v7                                       // 000000006480: 7E0E4107
	v_add_f32_e64 v4, v4, 1.0                                  // 000000006484: D1010004 0001E504
	v_add_f32_e64 v5, v5, 1.0                                  // 00000000648C: D1010005 0001E505
	v_add_f32_e64 v6, v6, 1.0                                  // 000000006494: D1010006 0001E506
	v_add_f32_e64 v7, v7, 1.0                                  // 00000000649C: D1010007 0001E507
	v_rcp_f32_e32 v4, v4                                       // 0000000064A4: 7E084504
	v_rcp_f32_e32 v5, v5                                       // 0000000064A8: 7E0A4505
	v_rcp_f32_e32 v6, v6                                       // 0000000064AC: 7E0C4506
	v_rcp_f32_e32 v7, v7                                       // 0000000064B0: 7E0E4507
	v_mul_f32_e32 v108, v108, v4                               // 0000000064B4: 0AD8096C
	v_mul_f32_e32 v109, v109, v5                               // 0000000064B8: 0ADA0B6D
	v_mul_f32_e32 v110, v110, v6                               // 0000000064BC: 0ADC0D6E
	v_mul_f32_e32 v111, v111, v7                               // 0000000064C0: 0ADE0F6F
	v_mul_f32_e32 v108, v108, v156                             // 0000000064C4: 0AD9396C
	v_mul_f32_e32 v109, v109, v157                             // 0000000064C8: 0ADB3B6D
	v_mul_f32_e32 v110, v110, v158                             // 0000000064CC: 0ADD3D6E
	v_mul_f32_e32 v111, v111, v159                             // 0000000064D0: 0ADF3F6F
	v_mul_f32_e64 v4, -v112, s6                                // 0000000064D4: D1050004 20000D70
	v_mul_f32_e64 v5, -v113, s6                                // 0000000064DC: D1050005 20000D71
	v_mul_f32_e64 v6, -v114, s6                                // 0000000064E4: D1050006 20000D72
	v_mul_f32_e64 v7, -v115, s6                                // 0000000064EC: D1050007 20000D73
	v_exp_f32_e32 v4, v4                                       // 0000000064F4: 7E084104
	v_exp_f32_e32 v5, v5                                       // 0000000064F8: 7E0A4105
	v_exp_f32_e32 v6, v6                                       // 0000000064FC: 7E0C4106
	v_exp_f32_e32 v7, v7                                       // 000000006500: 7E0E4107
	v_add_f32_e64 v4, v4, 1.0                                  // 000000006504: D1010004 0001E504
	v_add_f32_e64 v5, v5, 1.0                                  // 00000000650C: D1010005 0001E505
	v_add_f32_e64 v6, v6, 1.0                                  // 000000006514: D1010006 0001E506
	v_add_f32_e64 v7, v7, 1.0                                  // 00000000651C: D1010007 0001E507
	v_rcp_f32_e32 v4, v4                                       // 000000006524: 7E084504
	v_rcp_f32_e32 v5, v5                                       // 000000006528: 7E0A4505
	v_rcp_f32_e32 v6, v6                                       // 00000000652C: 7E0C4506
	v_rcp_f32_e32 v7, v7                                       // 000000006530: 7E0E4507
	v_mul_f32_e32 v112, v112, v4                               // 000000006534: 0AE00970
	v_mul_f32_e32 v113, v113, v5                               // 000000006538: 0AE20B71
	v_mul_f32_e32 v114, v114, v6                               // 00000000653C: 0AE40D72
	v_mul_f32_e32 v115, v115, v7                               // 000000006540: 0AE60F73
	v_mul_f32_e32 v112, v112, v160                             // 000000006544: 0AE14170
	v_mul_f32_e32 v113, v113, v161                             // 000000006548: 0AE34371
	v_mul_f32_e32 v114, v114, v162                             // 00000000654C: 0AE54572
	v_mul_f32_e32 v115, v115, v163                             // 000000006550: 0AE74773

0000000000006554 <label_0ED5>:
	v_cmp_u_f32_e64 s[46:47], v68, v68                         // 000000006554: D048002E 00028944
	v_add3_u32 v16, v68, v19, 1                                // 00000000655C: D1FF0010 02062744
	v_cndmask_b32_e64 v4, v16, v18, s[46:47]                   // 000000006564: D1000004 00BA2510
	v_cmp_u_f32_e64 s[46:47], v69, v69                         // 00000000656C: D048002E 00028B45
	v_add3_u32 v16, v69, v19, 1                                // 000000006574: D1FF0010 02062745
	v_cndmask_b32_e64 v5, v16, v18, s[46:47]                   // 00000000657C: D1000005 00BA2510
	v_perm_b32 v68, v5, v4, s52                                // 000000006584: D1ED0044 00D20905
	v_cmp_u_f32_e64 s[46:47], v70, v70                         // 00000000658C: D048002E 00028D46
	v_add3_u32 v16, v70, v19, 1                                // 000000006594: D1FF0010 02062746
	v_cndmask_b32_e64 v4, v16, v18, s[46:47]                   // 00000000659C: D1000004 00BA2510
	v_cmp_u_f32_e64 s[46:47], v71, v71                         // 0000000065A4: D048002E 00028F47
	v_add3_u32 v16, v71, v19, 1                                // 0000000065AC: D1FF0010 02062747
	v_cndmask_b32_e64 v5, v16, v18, s[46:47]                   // 0000000065B4: D1000005 00BA2510
	v_perm_b32 v69, v5, v4, s52                                // 0000000065BC: D1ED0045 00D20905
	v_cmp_u_f32_e64 s[46:47], v72, v72                         // 0000000065C4: D048002E 00029148
	v_add3_u32 v16, v72, v19, 1                                // 0000000065CC: D1FF0010 02062748
	v_cndmask_b32_e64 v4, v16, v18, s[46:47]                   // 0000000065D4: D1000004 00BA2510
	v_cmp_u_f32_e64 s[46:47], v73, v73                         // 0000000065DC: D048002E 00029349
	v_add3_u32 v16, v73, v19, 1                                // 0000000065E4: D1FF0010 02062749
	v_cndmask_b32_e64 v5, v16, v18, s[46:47]                   // 0000000065EC: D1000005 00BA2510
	v_perm_b32 v70, v5, v4, s52                                // 0000000065F4: D1ED0046 00D20905
	v_cmp_u_f32_e64 s[46:47], v74, v74                         // 0000000065FC: D048002E 0002954A
	v_add3_u32 v16, v74, v19, 1                                // 000000006604: D1FF0010 0206274A
	v_cndmask_b32_e64 v4, v16, v18, s[46:47]                   // 00000000660C: D1000004 00BA2510
	v_cmp_u_f32_e64 s[46:47], v75, v75                         // 000000006614: D048002E 0002974B
	v_add3_u32 v16, v75, v19, 1                                // 00000000661C: D1FF0010 0206274B
	v_cndmask_b32_e64 v5, v16, v18, s[46:47]                   // 000000006624: D1000005 00BA2510
	v_perm_b32 v71, v5, v4, s52                                // 00000000662C: D1ED0047 00D20905
	v_cmp_u_f32_e64 s[46:47], v76, v76                         // 000000006634: D048002E 0002994C
	v_add3_u32 v16, v76, v19, 1                                // 00000000663C: D1FF0010 0206274C
	v_cndmask_b32_e64 v4, v16, v18, s[46:47]                   // 000000006644: D1000004 00BA2510
	v_cmp_u_f32_e64 s[46:47], v77, v77                         // 00000000664C: D048002E 00029B4D
	v_add3_u32 v16, v77, v19, 1                                // 000000006654: D1FF0010 0206274D
	v_cndmask_b32_e64 v5, v16, v18, s[46:47]                   // 00000000665C: D1000005 00BA2510
	v_perm_b32 v72, v5, v4, s52                                // 000000006664: D1ED0048 00D20905
	v_cmp_u_f32_e64 s[46:47], v78, v78                         // 00000000666C: D048002E 00029D4E
	v_add3_u32 v16, v78, v19, 1                                // 000000006674: D1FF0010 0206274E
	v_cndmask_b32_e64 v4, v16, v18, s[46:47]                   // 00000000667C: D1000004 00BA2510
	v_cmp_u_f32_e64 s[46:47], v79, v79                         // 000000006684: D048002E 00029F4F
	v_add3_u32 v16, v79, v19, 1                                // 00000000668C: D1FF0010 0206274F
	v_cndmask_b32_e64 v5, v16, v18, s[46:47]                   // 000000006694: D1000005 00BA2510
	v_perm_b32 v73, v5, v4, s52                                // 00000000669C: D1ED0049 00D20905
	v_cmp_u_f32_e64 s[46:47], v80, v80                         // 0000000066A4: D048002E 0002A150
	v_add3_u32 v16, v80, v19, 1                                // 0000000066AC: D1FF0010 02062750
	v_cndmask_b32_e64 v4, v16, v18, s[46:47]                   // 0000000066B4: D1000004 00BA2510
	v_cmp_u_f32_e64 s[46:47], v81, v81                         // 0000000066BC: D048002E 0002A351
	v_add3_u32 v16, v81, v19, 1                                // 0000000066C4: D1FF0010 02062751
	v_cndmask_b32_e64 v5, v16, v18, s[46:47]                   // 0000000066CC: D1000005 00BA2510
	v_perm_b32 v74, v5, v4, s52                                // 0000000066D4: D1ED004A 00D20905
	v_cmp_u_f32_e64 s[46:47], v82, v82                         // 0000000066DC: D048002E 0002A552
	v_add3_u32 v16, v82, v19, 1                                // 0000000066E4: D1FF0010 02062752
	v_cndmask_b32_e64 v4, v16, v18, s[46:47]                   // 0000000066EC: D1000004 00BA2510
	v_cmp_u_f32_e64 s[46:47], v83, v83                         // 0000000066F4: D048002E 0002A753
	v_add3_u32 v16, v83, v19, 1                                // 0000000066FC: D1FF0010 02062753
	v_cndmask_b32_e64 v5, v16, v18, s[46:47]                   // 000000006704: D1000005 00BA2510
	v_perm_b32 v75, v5, v4, s52                                // 00000000670C: D1ED004B 00D20905
	v_cmp_u_f32_e64 s[46:47], v84, v84                         // 000000006714: D048002E 0002A954
	v_add3_u32 v16, v84, v19, 1                                // 00000000671C: D1FF0010 02062754
	v_cndmask_b32_e64 v4, v16, v18, s[46:47]                   // 000000006724: D1000004 00BA2510
	v_cmp_u_f32_e64 s[46:47], v85, v85                         // 00000000672C: D048002E 0002AB55
	v_add3_u32 v16, v85, v19, 1                                // 000000006734: D1FF0010 02062755
	v_cndmask_b32_e64 v5, v16, v18, s[46:47]                   // 00000000673C: D1000005 00BA2510
	v_perm_b32 v76, v5, v4, s52                                // 000000006744: D1ED004C 00D20905
	v_cmp_u_f32_e64 s[46:47], v86, v86                         // 00000000674C: D048002E 0002AD56
	v_add3_u32 v16, v86, v19, 1                                // 000000006754: D1FF0010 02062756
	v_cndmask_b32_e64 v4, v16, v18, s[46:47]                   // 00000000675C: D1000004 00BA2510
	v_cmp_u_f32_e64 s[46:47], v87, v87                         // 000000006764: D048002E 0002AF57
	v_add3_u32 v16, v87, v19, 1                                // 00000000676C: D1FF0010 02062757
	v_cndmask_b32_e64 v5, v16, v18, s[46:47]                   // 000000006774: D1000005 00BA2510
	v_perm_b32 v77, v5, v4, s52                                // 00000000677C: D1ED004D 00D20905
	v_cmp_u_f32_e64 s[46:47], v88, v88                         // 000000006784: D048002E 0002B158
	v_add3_u32 v16, v88, v19, 1                                // 00000000678C: D1FF0010 02062758
	v_cndmask_b32_e64 v4, v16, v18, s[46:47]                   // 000000006794: D1000004 00BA2510
	v_cmp_u_f32_e64 s[46:47], v89, v89                         // 00000000679C: D048002E 0002B359
	v_add3_u32 v16, v89, v19, 1                                // 0000000067A4: D1FF0010 02062759
	v_cndmask_b32_e64 v5, v16, v18, s[46:47]                   // 0000000067AC: D1000005 00BA2510
	v_perm_b32 v78, v5, v4, s52                                // 0000000067B4: D1ED004E 00D20905
	v_cmp_u_f32_e64 s[46:47], v90, v90                         // 0000000067BC: D048002E 0002B55A
	v_add3_u32 v16, v90, v19, 1                                // 0000000067C4: D1FF0010 0206275A
	v_cndmask_b32_e64 v4, v16, v18, s[46:47]                   // 0000000067CC: D1000004 00BA2510
	v_cmp_u_f32_e64 s[46:47], v91, v91                         // 0000000067D4: D048002E 0002B75B
	v_add3_u32 v16, v91, v19, 1                                // 0000000067DC: D1FF0010 0206275B
	v_cndmask_b32_e64 v5, v16, v18, s[46:47]                   // 0000000067E4: D1000005 00BA2510
	v_perm_b32 v79, v5, v4, s52                                // 0000000067EC: D1ED004F 00D20905
	v_cmp_u_f32_e64 s[46:47], v92, v92                         // 0000000067F4: D048002E 0002B95C
	v_add3_u32 v16, v92, v19, 1                                // 0000000067FC: D1FF0010 0206275C
	v_cndmask_b32_e64 v4, v16, v18, s[46:47]                   // 000000006804: D1000004 00BA2510
	v_cmp_u_f32_e64 s[46:47], v93, v93                         // 00000000680C: D048002E 0002BB5D
	v_add3_u32 v16, v93, v19, 1                                // 000000006814: D1FF0010 0206275D
	v_cndmask_b32_e64 v5, v16, v18, s[46:47]                   // 00000000681C: D1000005 00BA2510
	v_perm_b32 v80, v5, v4, s52                                // 000000006824: D1ED0050 00D20905
	v_cmp_u_f32_e64 s[46:47], v94, v94                         // 00000000682C: D048002E 0002BD5E
	v_add3_u32 v16, v94, v19, 1                                // 000000006834: D1FF0010 0206275E
	v_cndmask_b32_e64 v4, v16, v18, s[46:47]                   // 00000000683C: D1000004 00BA2510
	v_cmp_u_f32_e64 s[46:47], v95, v95                         // 000000006844: D048002E 0002BF5F
	v_add3_u32 v16, v95, v19, 1                                // 00000000684C: D1FF0010 0206275F
	v_cndmask_b32_e64 v5, v16, v18, s[46:47]                   // 000000006854: D1000005 00BA2510
	v_perm_b32 v81, v5, v4, s52                                // 00000000685C: D1ED0051 00D20905
	v_cmp_u_f32_e64 s[46:47], v96, v96                         // 000000006864: D048002E 0002C160
	v_add3_u32 v16, v96, v19, 1                                // 00000000686C: D1FF0010 02062760
	v_cndmask_b32_e64 v4, v16, v18, s[46:47]                   // 000000006874: D1000004 00BA2510
	v_cmp_u_f32_e64 s[46:47], v97, v97                         // 00000000687C: D048002E 0002C361
	v_add3_u32 v16, v97, v19, 1                                // 000000006884: D1FF0010 02062761
	v_cndmask_b32_e64 v5, v16, v18, s[46:47]                   // 00000000688C: D1000005 00BA2510
	v_perm_b32 v82, v5, v4, s52                                // 000000006894: D1ED0052 00D20905
	v_cmp_u_f32_e64 s[46:47], v98, v98                         // 00000000689C: D048002E 0002C562
	v_add3_u32 v16, v98, v19, 1                                // 0000000068A4: D1FF0010 02062762
	v_cndmask_b32_e64 v4, v16, v18, s[46:47]                   // 0000000068AC: D1000004 00BA2510
	v_cmp_u_f32_e64 s[46:47], v99, v99                         // 0000000068B4: D048002E 0002C763
	v_add3_u32 v16, v99, v19, 1                                // 0000000068BC: D1FF0010 02062763
	v_cndmask_b32_e64 v5, v16, v18, s[46:47]                   // 0000000068C4: D1000005 00BA2510
	v_perm_b32 v83, v5, v4, s52                                // 0000000068CC: D1ED0053 00D20905
	v_cmp_u_f32_e64 s[46:47], v100, v100                       // 0000000068D4: D048002E 0002C964
	v_add3_u32 v16, v100, v19, 1                               // 0000000068DC: D1FF0010 02062764
	v_cndmask_b32_e64 v4, v16, v18, s[46:47]                   // 0000000068E4: D1000004 00BA2510
	v_cmp_u_f32_e64 s[46:47], v101, v101                       // 0000000068EC: D048002E 0002CB65
	v_add3_u32 v16, v101, v19, 1                               // 0000000068F4: D1FF0010 02062765
	v_cndmask_b32_e64 v5, v16, v18, s[46:47]                   // 0000000068FC: D1000005 00BA2510
	v_perm_b32 v84, v5, v4, s52                                // 000000006904: D1ED0054 00D20905
	v_cmp_u_f32_e64 s[46:47], v102, v102                       // 00000000690C: D048002E 0002CD66
	v_add3_u32 v16, v102, v19, 1                               // 000000006914: D1FF0010 02062766
	v_cndmask_b32_e64 v4, v16, v18, s[46:47]                   // 00000000691C: D1000004 00BA2510
	v_cmp_u_f32_e64 s[46:47], v103, v103                       // 000000006924: D048002E 0002CF67
	v_add3_u32 v16, v103, v19, 1                               // 00000000692C: D1FF0010 02062767
	v_cndmask_b32_e64 v5, v16, v18, s[46:47]                   // 000000006934: D1000005 00BA2510
	v_perm_b32 v85, v5, v4, s52                                // 00000000693C: D1ED0055 00D20905
	v_cmp_u_f32_e64 s[46:47], v104, v104                       // 000000006944: D048002E 0002D168
	v_add3_u32 v16, v104, v19, 1                               // 00000000694C: D1FF0010 02062768
	v_cndmask_b32_e64 v4, v16, v18, s[46:47]                   // 000000006954: D1000004 00BA2510
	v_cmp_u_f32_e64 s[46:47], v105, v105                       // 00000000695C: D048002E 0002D369
	v_add3_u32 v16, v105, v19, 1                               // 000000006964: D1FF0010 02062769
	v_cndmask_b32_e64 v5, v16, v18, s[46:47]                   // 00000000696C: D1000005 00BA2510
	v_perm_b32 v86, v5, v4, s52                                // 000000006974: D1ED0056 00D20905
	v_cmp_u_f32_e64 s[46:47], v106, v106                       // 00000000697C: D048002E 0002D56A
	v_add3_u32 v16, v106, v19, 1                               // 000000006984: D1FF0010 0206276A
	v_cndmask_b32_e64 v4, v16, v18, s[46:47]                   // 00000000698C: D1000004 00BA2510
	v_cmp_u_f32_e64 s[46:47], v107, v107                       // 000000006994: D048002E 0002D76B
	v_add3_u32 v16, v107, v19, 1                               // 00000000699C: D1FF0010 0206276B
	v_cndmask_b32_e64 v5, v16, v18, s[46:47]                   // 0000000069A4: D1000005 00BA2510
	v_perm_b32 v87, v5, v4, s52                                // 0000000069AC: D1ED0057 00D20905
	v_cmp_u_f32_e64 s[46:47], v108, v108                       // 0000000069B4: D048002E 0002D96C
	v_add3_u32 v16, v108, v19, 1                               // 0000000069BC: D1FF0010 0206276C
	v_cndmask_b32_e64 v4, v16, v18, s[46:47]                   // 0000000069C4: D1000004 00BA2510
	v_cmp_u_f32_e64 s[46:47], v109, v109                       // 0000000069CC: D048002E 0002DB6D
	v_add3_u32 v16, v109, v19, 1                               // 0000000069D4: D1FF0010 0206276D
	v_cndmask_b32_e64 v5, v16, v18, s[46:47]                   // 0000000069DC: D1000005 00BA2510
	v_perm_b32 v88, v5, v4, s52                                // 0000000069E4: D1ED0058 00D20905
	v_cmp_u_f32_e64 s[46:47], v110, v110                       // 0000000069EC: D048002E 0002DD6E
	v_add3_u32 v16, v110, v19, 1                               // 0000000069F4: D1FF0010 0206276E
	v_cndmask_b32_e64 v4, v16, v18, s[46:47]                   // 0000000069FC: D1000004 00BA2510
	v_cmp_u_f32_e64 s[46:47], v111, v111                       // 000000006A04: D048002E 0002DF6F
	v_add3_u32 v16, v111, v19, 1                               // 000000006A0C: D1FF0010 0206276F
	v_cndmask_b32_e64 v5, v16, v18, s[46:47]                   // 000000006A14: D1000005 00BA2510
	v_perm_b32 v89, v5, v4, s52                                // 000000006A1C: D1ED0059 00D20905
	v_cmp_u_f32_e64 s[46:47], v112, v112                       // 000000006A24: D048002E 0002E170
	v_add3_u32 v16, v112, v19, 1                               // 000000006A2C: D1FF0010 02062770
	v_cndmask_b32_e64 v4, v16, v18, s[46:47]                   // 000000006A34: D1000004 00BA2510
	v_cmp_u_f32_e64 s[46:47], v113, v113                       // 000000006A3C: D048002E 0002E371
	v_add3_u32 v16, v113, v19, 1                               // 000000006A44: D1FF0010 02062771
	v_cndmask_b32_e64 v5, v16, v18, s[46:47]                   // 000000006A4C: D1000005 00BA2510
	v_perm_b32 v90, v5, v4, s52                                // 000000006A54: D1ED005A 00D20905
	v_cmp_u_f32_e64 s[46:47], v114, v114                       // 000000006A5C: D048002E 0002E572
	v_add3_u32 v16, v114, v19, 1                               // 000000006A64: D1FF0010 02062772
	v_cndmask_b32_e64 v4, v16, v18, s[46:47]                   // 000000006A6C: D1000004 00BA2510
	v_cmp_u_f32_e64 s[46:47], v115, v115                       // 000000006A74: D048002E 0002E773
	v_add3_u32 v16, v115, v19, 1                               // 000000006A7C: D1FF0010 02062773
	v_cndmask_b32_e64 v5, v16, v18, s[46:47]                   // 000000006A84: D1000005 00BA2510
	v_perm_b32 v91, v5, v4, s52                                // 000000006A8C: D1ED005B 00D20905
	ds_write_b64 v20, v[68:69]                                 // 000000006A94: D89A0000 00004414
	ds_write_b64 v20, v[70:71] offset:4352                     // 000000006A9C: D89A1100 00004614
	ds_write_b64 v20, v[72:73] offset:8704                     // 000000006AA4: D89A2200 00004814
	ds_write_b64 v20, v[74:75] offset:13056                    // 000000006AAC: D89A3300 00004A14
	ds_write_b64 v20, v[76:77] offset:17408                    // 000000006AB4: D89A4400 00004C14
	ds_write_b64 v20, v[78:79] offset:21760                    // 000000006ABC: D89A5500 00004E14
	ds_write_b64 v20, v[80:81] offset:2176                     // 000000006AC4: D89A0880 00005014
	ds_write_b64 v20, v[82:83] offset:6528                     // 000000006ACC: D89A1980 00005214
	ds_write_b64 v20, v[84:85] offset:10880                    // 000000006AD4: D89A2A80 00005414
	ds_write_b64 v20, v[86:87] offset:15232                    // 000000006ADC: D89A3B80 00005614
	ds_write_b64 v20, v[88:89] offset:19584                    // 000000006AE4: D89A4C80 00005814
	ds_write_b64 v20, v[90:91] offset:23936                    // 000000006AEC: D89A5D80 00005A14
	v_lshrrev_b32_e32 v4, 5, v0                                // 000000006AF4: 20080085
	v_xor_b32_e32 v5, 1, v4                                    // 000000006AF8: 2A0A0881
	s_mul_i32 s60, s65, 2                                      // 000000006AFC: 923C8241
	s_cmp_eq_u32 s88, 0                                        // 000000006B00: BF068058
	s_cselect_b32 s61, 1, 4                                    // 000000006B04: 853D8481
	s_mul_i32 s60, s61, s60                                    // 000000006B08: 923C3C3D
	v_readlane_b32 s82, v3, 0                                  // 000000006B0C: D2890052 00010103
	s_lshr_b32 s61, s82, 24                                    // 000000006B14: 8F3D9852
	s_and_b32 s82, s82, 0xffffff                               // 000000006B18: 8652FF52 00FFFFFF
	s_mul_i32 s82, s82, s71                                    // 000000006B20: 92524752
	s_mul_i32 s61, s60, s61                                    // 000000006B24: 923D3D3C
	s_add_u32 s82, s82, s61                                    // 000000006B28: 80523D52
	v_mul_lo_u32 v6, v5, s82                                   // 000000006B2C: D2850006 0000A505
	v_readlane_b32 s82, v3, 1                                  // 000000006B34: D2890052 00010303
	s_lshr_b32 s61, s82, 24                                    // 000000006B3C: 8F3D9852
	s_and_b32 s82, s82, 0xffffff                               // 000000006B40: 8652FF52 00FFFFFF
	s_mul_i32 s82, s82, s71                                    // 000000006B48: 92524752
	s_mul_i32 s61, s60, s61                                    // 000000006B4C: 923D3D3C
	s_add_u32 s82, s82, s61                                    // 000000006B50: 80523D52
	v_mul_lo_u32 v7, v4, s82                                   // 000000006B54: D2850007 0000A504
	v_add_u32_e32 v54, v6, v7                                  // 000000006B5C: 686C0F06
	v_readlane_b32 s82, v3, 2                                  // 000000006B60: D2890052 00010503
	s_lshr_b32 s61, s82, 24                                    // 000000006B68: 8F3D9852
	s_and_b32 s82, s82, 0xffffff                               // 000000006B6C: 8652FF52 00FFFFFF
	s_mul_i32 s82, s82, s71                                    // 000000006B74: 92524752
	s_mul_i32 s61, s60, s61                                    // 000000006B78: 923D3D3C
	s_add_u32 s82, s82, s61                                    // 000000006B7C: 80523D52
	v_mul_lo_u32 v6, v5, s82                                   // 000000006B80: D2850006 0000A505
	v_readlane_b32 s82, v3, 3                                  // 000000006B88: D2890052 00010703
	s_lshr_b32 s61, s82, 24                                    // 000000006B90: 8F3D9852
	s_and_b32 s82, s82, 0xffffff                               // 000000006B94: 8652FF52 00FFFFFF
	s_mul_i32 s82, s82, s71                                    // 000000006B9C: 92524752
	s_mul_i32 s61, s60, s61                                    // 000000006BA0: 923D3D3C
	s_add_u32 s82, s82, s61                                    // 000000006BA4: 80523D52
	v_mul_lo_u32 v7, v4, s82                                   // 000000006BA8: D2850007 0000A504
	v_add_u32_e32 v55, v6, v7                                  // 000000006BB0: 686E0F06
	v_readlane_b32 s82, v3, 4                                  // 000000006BB4: D2890052 00010903
	s_lshr_b32 s61, s82, 24                                    // 000000006BBC: 8F3D9852
	s_and_b32 s82, s82, 0xffffff                               // 000000006BC0: 8652FF52 00FFFFFF
	s_mul_i32 s82, s82, s71                                    // 000000006BC8: 92524752
	s_mul_i32 s61, s60, s61                                    // 000000006BCC: 923D3D3C
	s_add_u32 s82, s82, s61                                    // 000000006BD0: 80523D52
	v_mul_lo_u32 v6, v5, s82                                   // 000000006BD4: D2850006 0000A505
	v_readlane_b32 s82, v3, 5                                  // 000000006BDC: D2890052 00010B03
	s_lshr_b32 s61, s82, 24                                    // 000000006BE4: 8F3D9852
	s_and_b32 s82, s82, 0xffffff                               // 000000006BE8: 8652FF52 00FFFFFF
	s_mul_i32 s82, s82, s71                                    // 000000006BF0: 92524752
	s_mul_i32 s61, s60, s61                                    // 000000006BF4: 923D3D3C
	s_add_u32 s82, s82, s61                                    // 000000006BF8: 80523D52
	v_mul_lo_u32 v7, v4, s82                                   // 000000006BFC: D2850007 0000A504
	v_add_u32_e32 v56, v6, v7                                  // 000000006C04: 68700F06
	v_readlane_b32 s82, v3, 6                                  // 000000006C08: D2890052 00010D03
	s_lshr_b32 s61, s82, 24                                    // 000000006C10: 8F3D9852
	s_and_b32 s82, s82, 0xffffff                               // 000000006C14: 8652FF52 00FFFFFF
	s_mul_i32 s82, s82, s71                                    // 000000006C1C: 92524752
	s_mul_i32 s61, s60, s61                                    // 000000006C20: 923D3D3C
	s_add_u32 s82, s82, s61                                    // 000000006C24: 80523D52
	v_mul_lo_u32 v6, v5, s82                                   // 000000006C28: D2850006 0000A505
	v_readlane_b32 s82, v3, 7                                  // 000000006C30: D2890052 00010F03
	s_lshr_b32 s61, s82, 24                                    // 000000006C38: 8F3D9852
	s_and_b32 s82, s82, 0xffffff                               // 000000006C3C: 8652FF52 00FFFFFF
	s_mul_i32 s82, s82, s71                                    // 000000006C44: 92524752
	s_mul_i32 s61, s60, s61                                    // 000000006C48: 923D3D3C
	s_add_u32 s82, s82, s61                                    // 000000006C4C: 80523D52
	v_mul_lo_u32 v7, v4, s82                                   // 000000006C50: D2850007 0000A504
	v_add_u32_e32 v57, v6, v7                                  // 000000006C58: 68720F06
	v_readlane_b32 s82, v3, 8                                  // 000000006C5C: D2890052 00011103
	s_lshr_b32 s61, s82, 24                                    // 000000006C64: 8F3D9852
	s_and_b32 s82, s82, 0xffffff                               // 000000006C68: 8652FF52 00FFFFFF
	s_mul_i32 s82, s82, s71                                    // 000000006C70: 92524752
	s_mul_i32 s61, s60, s61                                    // 000000006C74: 923D3D3C
	s_add_u32 s82, s82, s61                                    // 000000006C78: 80523D52
	v_mul_lo_u32 v6, v5, s82                                   // 000000006C7C: D2850006 0000A505
	v_readlane_b32 s82, v3, 9                                  // 000000006C84: D2890052 00011303
	s_lshr_b32 s61, s82, 24                                    // 000000006C8C: 8F3D9852
	s_and_b32 s82, s82, 0xffffff                               // 000000006C90: 8652FF52 00FFFFFF
	s_mul_i32 s82, s82, s71                                    // 000000006C98: 92524752
	s_mul_i32 s61, s60, s61                                    // 000000006C9C: 923D3D3C
	s_add_u32 s82, s82, s61                                    // 000000006CA0: 80523D52
	v_mul_lo_u32 v7, v4, s82                                   // 000000006CA4: D2850007 0000A504
	v_add_u32_e32 v58, v6, v7                                  // 000000006CAC: 68740F06
	v_readlane_b32 s82, v3, 10                                 // 000000006CB0: D2890052 00011503
	s_lshr_b32 s61, s82, 24                                    // 000000006CB8: 8F3D9852
	s_and_b32 s82, s82, 0xffffff                               // 000000006CBC: 8652FF52 00FFFFFF
	s_mul_i32 s82, s82, s71                                    // 000000006CC4: 92524752
	s_mul_i32 s61, s60, s61                                    // 000000006CC8: 923D3D3C
	s_add_u32 s82, s82, s61                                    // 000000006CCC: 80523D52
	v_mul_lo_u32 v6, v5, s82                                   // 000000006CD0: D2850006 0000A505
	v_readlane_b32 s82, v3, 11                                 // 000000006CD8: D2890052 00011703
	s_lshr_b32 s61, s82, 24                                    // 000000006CE0: 8F3D9852
	s_and_b32 s82, s82, 0xffffff                               // 000000006CE4: 8652FF52 00FFFFFF
	s_mul_i32 s82, s82, s71                                    // 000000006CEC: 92524752
	s_mul_i32 s61, s60, s61                                    // 000000006CF0: 923D3D3C
	s_add_u32 s82, s82, s61                                    // 000000006CF4: 80523D52
	v_mul_lo_u32 v7, v4, s82                                   // 000000006CF8: D2850007 0000A504
	v_add_u32_e32 v59, v6, v7                                  // 000000006D00: 68760F06
	v_readlane_b32 s82, v3, 12                                 // 000000006D04: D2890052 00011903
	s_lshr_b32 s61, s82, 24                                    // 000000006D0C: 8F3D9852
	s_and_b32 s82, s82, 0xffffff                               // 000000006D10: 8652FF52 00FFFFFF
	s_mul_i32 s82, s82, s71                                    // 000000006D18: 92524752
	s_mul_i32 s61, s60, s61                                    // 000000006D1C: 923D3D3C
	s_add_u32 s82, s82, s61                                    // 000000006D20: 80523D52
	v_mul_lo_u32 v6, v5, s82                                   // 000000006D24: D2850006 0000A505
	v_readlane_b32 s82, v3, 13                                 // 000000006D2C: D2890052 00011B03
	s_lshr_b32 s61, s82, 24                                    // 000000006D34: 8F3D9852
	s_and_b32 s82, s82, 0xffffff                               // 000000006D38: 8652FF52 00FFFFFF
	s_mul_i32 s82, s82, s71                                    // 000000006D40: 92524752
	s_mul_i32 s61, s60, s61                                    // 000000006D44: 923D3D3C
	s_add_u32 s82, s82, s61                                    // 000000006D48: 80523D52
	v_mul_lo_u32 v7, v4, s82                                   // 000000006D4C: D2850007 0000A504
	v_add_u32_e32 v60, v6, v7                                  // 000000006D54: 68780F06
	v_readlane_b32 s82, v3, 14                                 // 000000006D58: D2890052 00011D03
	s_lshr_b32 s61, s82, 24                                    // 000000006D60: 8F3D9852
	s_and_b32 s82, s82, 0xffffff                               // 000000006D64: 8652FF52 00FFFFFF
	s_mul_i32 s82, s82, s71                                    // 000000006D6C: 92524752
	s_mul_i32 s61, s60, s61                                    // 000000006D70: 923D3D3C
	s_add_u32 s82, s82, s61                                    // 000000006D74: 80523D52
	v_mul_lo_u32 v6, v5, s82                                   // 000000006D78: D2850006 0000A505
	v_readlane_b32 s82, v3, 15                                 // 000000006D80: D2890052 00011F03
	s_lshr_b32 s61, s82, 24                                    // 000000006D88: 8F3D9852
	s_and_b32 s82, s82, 0xffffff                               // 000000006D8C: 8652FF52 00FFFFFF
	s_mul_i32 s82, s82, s71                                    // 000000006D94: 92524752
	s_mul_i32 s61, s60, s61                                    // 000000006D98: 923D3D3C
	s_add_u32 s82, s82, s61                                    // 000000006D9C: 80523D52
	v_mul_lo_u32 v7, v4, s82                                   // 000000006DA0: D2850007 0000A504
	v_add_u32_e32 v61, v6, v7                                  // 000000006DA8: 687A0F06
	v_readlane_b32 s82, v3, 16                                 // 000000006DAC: D2890052 00012103
	s_lshr_b32 s61, s82, 24                                    // 000000006DB4: 8F3D9852
	s_and_b32 s82, s82, 0xffffff                               // 000000006DB8: 8652FF52 00FFFFFF
	s_mul_i32 s82, s82, s71                                    // 000000006DC0: 92524752
	s_mul_i32 s61, s60, s61                                    // 000000006DC4: 923D3D3C
	s_add_u32 s82, s82, s61                                    // 000000006DC8: 80523D52
	v_mul_lo_u32 v6, v5, s82                                   // 000000006DCC: D2850006 0000A505
	v_readlane_b32 s82, v3, 17                                 // 000000006DD4: D2890052 00012303
	s_lshr_b32 s61, s82, 24                                    // 000000006DDC: 8F3D9852
	s_and_b32 s82, s82, 0xffffff                               // 000000006DE0: 8652FF52 00FFFFFF
	s_mul_i32 s82, s82, s71                                    // 000000006DE8: 92524752
	s_mul_i32 s61, s60, s61                                    // 000000006DEC: 923D3D3C
	s_add_u32 s82, s82, s61                                    // 000000006DF0: 80523D52
	v_mul_lo_u32 v7, v4, s82                                   // 000000006DF4: D2850007 0000A504
	v_add_u32_e32 v62, v6, v7                                  // 000000006DFC: 687C0F06
	v_readlane_b32 s82, v3, 18                                 // 000000006E00: D2890052 00012503
	s_lshr_b32 s61, s82, 24                                    // 000000006E08: 8F3D9852
	s_and_b32 s82, s82, 0xffffff                               // 000000006E0C: 8652FF52 00FFFFFF
	s_mul_i32 s82, s82, s71                                    // 000000006E14: 92524752
	s_mul_i32 s61, s60, s61                                    // 000000006E18: 923D3D3C
	s_add_u32 s82, s82, s61                                    // 000000006E1C: 80523D52
	v_mul_lo_u32 v6, v5, s82                                   // 000000006E20: D2850006 0000A505
	v_readlane_b32 s82, v3, 19                                 // 000000006E28: D2890052 00012703
	s_lshr_b32 s61, s82, 24                                    // 000000006E30: 8F3D9852
	s_and_b32 s82, s82, 0xffffff                               // 000000006E34: 8652FF52 00FFFFFF
	s_mul_i32 s82, s82, s71                                    // 000000006E3C: 92524752
	s_mul_i32 s61, s60, s61                                    // 000000006E40: 923D3D3C
	s_add_u32 s82, s82, s61                                    // 000000006E44: 80523D52
	v_mul_lo_u32 v7, v4, s82                                   // 000000006E48: D2850007 0000A504
	v_add_u32_e32 v63, v6, v7                                  // 000000006E50: 687E0F06
	v_readlane_b32 s82, v3, 20                                 // 000000006E54: D2890052 00012903
	s_lshr_b32 s61, s82, 24                                    // 000000006E5C: 8F3D9852
	s_and_b32 s82, s82, 0xffffff                               // 000000006E60: 8652FF52 00FFFFFF
	s_mul_i32 s82, s82, s71                                    // 000000006E68: 92524752
	s_mul_i32 s61, s60, s61                                    // 000000006E6C: 923D3D3C
	s_add_u32 s82, s82, s61                                    // 000000006E70: 80523D52
	v_mul_lo_u32 v6, v5, s82                                   // 000000006E74: D2850006 0000A505
	v_readlane_b32 s82, v3, 21                                 // 000000006E7C: D2890052 00012B03
	s_lshr_b32 s61, s82, 24                                    // 000000006E84: 8F3D9852
	s_and_b32 s82, s82, 0xffffff                               // 000000006E88: 8652FF52 00FFFFFF
	s_mul_i32 s82, s82, s71                                    // 000000006E90: 92524752
	s_mul_i32 s61, s60, s61                                    // 000000006E94: 923D3D3C
	s_add_u32 s82, s82, s61                                    // 000000006E98: 80523D52
	v_mul_lo_u32 v7, v4, s82                                   // 000000006E9C: D2850007 0000A504
	v_add_u32_e32 v64, v6, v7                                  // 000000006EA4: 68800F06
	v_readlane_b32 s82, v3, 22                                 // 000000006EA8: D2890052 00012D03
	s_lshr_b32 s61, s82, 24                                    // 000000006EB0: 8F3D9852
	s_and_b32 s82, s82, 0xffffff                               // 000000006EB4: 8652FF52 00FFFFFF
	s_mul_i32 s82, s82, s71                                    // 000000006EBC: 92524752
	s_mul_i32 s61, s60, s61                                    // 000000006EC0: 923D3D3C
	s_add_u32 s82, s82, s61                                    // 000000006EC4: 80523D52
	v_mul_lo_u32 v6, v5, s82                                   // 000000006EC8: D2850006 0000A505
	v_readlane_b32 s82, v3, 23                                 // 000000006ED0: D2890052 00012F03
	s_lshr_b32 s61, s82, 24                                    // 000000006ED8: 8F3D9852
	s_and_b32 s82, s82, 0xffffff                               // 000000006EDC: 8652FF52 00FFFFFF
	s_mul_i32 s82, s82, s71                                    // 000000006EE4: 92524752
	s_mul_i32 s61, s60, s61                                    // 000000006EE8: 923D3D3C
	s_add_u32 s82, s82, s61                                    // 000000006EEC: 80523D52
	v_mul_lo_u32 v7, v4, s82                                   // 000000006EF0: D2850007 0000A504
	v_add_u32_e32 v65, v6, v7                                  // 000000006EF8: 68820F06
	v_and_b32_e32 v4, 31, v0                                   // 000000006EFC: 2608009F
	v_lshrrev_b32_e32 v4, 1, v4                                // 000000006F00: 20080881
	s_cmp_eq_u32 s88, 0                                        // 000000006F04: BF068058
	s_cselect_b32 s61, 2, 4                                    // 000000006F08: 853D8482
	v_mul_lo_u32 v4, v4, s61                                   // 000000006F0C: D2850004 00007B04
	v_and_b32_e64 v5, v0, 1                                    // 000000006F14: D1130005 00010300
	v_add_u32_e32 v4, v4, v5                                   // 000000006F1C: 68080B04
	v_lshlrev_b32_e32 v4, 2, v4                                // 000000006F20: 24080882
	v_add_u32_e32 v54, v54, v4                                 // 000000006F24: 686C0936
	v_add_u32_e32 v55, v55, v4                                 // 000000006F28: 686E0937
	v_add_u32_e32 v56, v56, v4                                 // 000000006F2C: 68700938
	v_add_u32_e32 v57, v57, v4                                 // 000000006F30: 68720939
	v_add_u32_e32 v58, v58, v4                                 // 000000006F34: 6874093A
	v_add_u32_e32 v59, v59, v4                                 // 000000006F38: 6876093B
	v_add_u32_e32 v60, v60, v4                                 // 000000006F3C: 6878093C
	v_add_u32_e32 v61, v61, v4                                 // 000000006F40: 687A093D
	v_add_u32_e32 v62, v62, v4                                 // 000000006F44: 687C093E
	v_add_u32_e32 v63, v63, v4                                 // 000000006F48: 687E093F
	v_add_u32_e32 v64, v64, v4                                 // 000000006F4C: 68800940
	v_add_u32_e32 v65, v65, v4                                 // 000000006F50: 68820941
	s_waitcnt lgkmcnt(0)                                       // 000000006F54: BF8CC07F
	s_barrier                                                  // 000000006F58: BF8A0000
	ds_read_b32 v68, v21                                       // 000000006F5C: D86C0000 44000015
	ds_read_b32 v69, v21 offset:64                             // 000000006F64: D86C0040 45000015
	ds_read_b32 v70, v21 offset:2176                           // 000000006F6C: D86C0880 46000015
	ds_read_b32 v71, v21 offset:2240                           // 000000006F74: D86C08C0 47000015
	ds_read_b32 v72, v21 offset:4352                           // 000000006F7C: D86C1100 48000015
	ds_read_b32 v73, v21 offset:4416                           // 000000006F84: D86C1140 49000015
	ds_read_b32 v74, v21 offset:6528                           // 000000006F8C: D86C1980 4A000015
	ds_read_b32 v75, v21 offset:6592                           // 000000006F94: D86C19C0 4B000015
	ds_read_b32 v76, v21 offset:8704                           // 000000006F9C: D86C2200 4C000015
	ds_read_b32 v77, v21 offset:8768                           // 000000006FA4: D86C2240 4D000015
	ds_read_b32 v78, v21 offset:10880                          // 000000006FAC: D86C2A80 4E000015
	ds_read_b32 v79, v21 offset:10944                          // 000000006FB4: D86C2AC0 4F000015
	ds_read_b32 v80, v21 offset:13056                          // 000000006FBC: D86C3300 50000015
	ds_read_b32 v81, v21 offset:13120                          // 000000006FC4: D86C3340 51000015
	ds_read_b32 v82, v21 offset:15232                          // 000000006FCC: D86C3B80 52000015
	ds_read_b32 v83, v21 offset:15296                          // 000000006FD4: D86C3BC0 53000015
	ds_read_b32 v84, v21 offset:17408                          // 000000006FDC: D86C4400 54000015
	ds_read_b32 v85, v21 offset:17472                          // 000000006FE4: D86C4440 55000015
	ds_read_b32 v86, v21 offset:19584                          // 000000006FEC: D86C4C80 56000015
	ds_read_b32 v87, v21 offset:19648                          // 000000006FF4: D86C4CC0 57000015
	ds_read_b32 v88, v21 offset:21760                          // 000000006FFC: D86C5500 58000015
	ds_read_b32 v89, v21 offset:21824                          // 000000007004: D86C5540 59000015
	ds_read_b32 v90, v21 offset:23936                          // 00000000700C: D86C5D80 5A000015
	ds_read_b32 v91, v21 offset:24000                          // 000000007014: D86C5DC0 5B000015
	s_waitcnt lgkmcnt(0)                                       // 00000000701C: BF8CC07F
	s_mov_b32 s36, -1                                          // 000000007020: BEA400C1
	s_mov_b32 s37, -1                                          // 000000007024: BEA500C1
	v_mov_b32_e32 v7, 0                                        // 000000007028: 7E0E0280
	s_or_b32 s9, s9, 0x40000                                   // 00000000702C: 8709FF09 00040000
	s_mov_b64 exec, s[36:37]                                   // 000000007034: BEFE0124
	v_mov_b32_e32 v6, v54                                      // 000000007038: 7E0C0336
	s_mov_b64 s[60:61], 0                                      // 00000000703C: BEBC0180
	v_readlane_b32 s82, v3, 0                                  // 000000007040: D2890052 00010103
	s_and_b32 s82, s82, 0xffffff                               // 000000007048: 8652FF52 00FFFFFF
	s_cmp_lt_u32 s82, s66                                      // 000000007050: BF0A4252
	s_cselect_b32 s20, s36, s60                                // 000000007054: 85143C24
	v_readlane_b32 s82, v3, 1                                  // 000000007058: D2890052 00010303
	s_and_b32 s82, s82, 0xffffff                               // 000000007060: 8652FF52 00FFFFFF
	s_cmp_lt_u32 s82, s66                                      // 000000007068: BF0A4252
	s_cselect_b32 s21, s36, s60                                // 00000000706C: 85153C24
	s_mov_b64 exec, s[20:21]                                   // 000000007070: BEFE0114
	buffer_store_dword v68, v6, s[8:11], 0 offen               // 000000007074: E0701000 80024406
	buffer_store_dword v70, v6, s[8:11], 0 offen offset:128    // 00000000707C: E0701080 80024606
	s_mov_b64 exec, s[36:37]                                   // 000000007084: BEFE0124
	v_mov_b32_e32 v6, v55                                      // 000000007088: 7E0C0337
	s_mov_b64 s[60:61], 0                                      // 00000000708C: BEBC0180
	v_readlane_b32 s82, v3, 2                                  // 000000007090: D2890052 00010503
	s_and_b32 s82, s82, 0xffffff                               // 000000007098: 8652FF52 00FFFFFF
	s_cmp_lt_u32 s82, s66                                      // 0000000070A0: BF0A4252
	s_cselect_b32 s20, s36, s60                                // 0000000070A4: 85143C24
	v_readlane_b32 s82, v3, 3                                  // 0000000070A8: D2890052 00010703
	s_and_b32 s82, s82, 0xffffff                               // 0000000070B0: 8652FF52 00FFFFFF
	s_cmp_lt_u32 s82, s66                                      // 0000000070B8: BF0A4252
	s_cselect_b32 s21, s36, s60                                // 0000000070BC: 85153C24
	s_mov_b64 exec, s[20:21]                                   // 0000000070C0: BEFE0114
	buffer_store_dword v69, v6, s[8:11], 0 offen               // 0000000070C4: E0701000 80024506
	buffer_store_dword v71, v6, s[8:11], 0 offen offset:128    // 0000000070CC: E0701080 80024706
	s_mov_b64 exec, s[36:37]                                   // 0000000070D4: BEFE0124
	v_mov_b32_e32 v6, v56                                      // 0000000070D8: 7E0C0338
	s_mov_b64 s[60:61], 0                                      // 0000000070DC: BEBC0180
	v_readlane_b32 s82, v3, 4                                  // 0000000070E0: D2890052 00010903
	s_and_b32 s82, s82, 0xffffff                               // 0000000070E8: 8652FF52 00FFFFFF
	s_cmp_lt_u32 s82, s66                                      // 0000000070F0: BF0A4252
	s_cselect_b32 s20, s36, s60                                // 0000000070F4: 85143C24
	v_readlane_b32 s82, v3, 5                                  // 0000000070F8: D2890052 00010B03
	s_and_b32 s82, s82, 0xffffff                               // 000000007100: 8652FF52 00FFFFFF
	s_cmp_lt_u32 s82, s66                                      // 000000007108: BF0A4252
	s_cselect_b32 s21, s36, s60                                // 00000000710C: 85153C24
	s_mov_b64 exec, s[20:21]                                   // 000000007110: BEFE0114
	buffer_store_dword v72, v6, s[8:11], 0 offen               // 000000007114: E0701000 80024806
	buffer_store_dword v74, v6, s[8:11], 0 offen offset:128    // 00000000711C: E0701080 80024A06
	s_mov_b64 exec, s[36:37]                                   // 000000007124: BEFE0124
	v_mov_b32_e32 v6, v57                                      // 000000007128: 7E0C0339
	s_mov_b64 s[60:61], 0                                      // 00000000712C: BEBC0180
	v_readlane_b32 s82, v3, 6                                  // 000000007130: D2890052 00010D03
	s_and_b32 s82, s82, 0xffffff                               // 000000007138: 8652FF52 00FFFFFF
	s_cmp_lt_u32 s82, s66                                      // 000000007140: BF0A4252
	s_cselect_b32 s20, s36, s60                                // 000000007144: 85143C24
	v_readlane_b32 s82, v3, 7                                  // 000000007148: D2890052 00010F03
	s_and_b32 s82, s82, 0xffffff                               // 000000007150: 8652FF52 00FFFFFF
	s_cmp_lt_u32 s82, s66                                      // 000000007158: BF0A4252
	s_cselect_b32 s21, s36, s60                                // 00000000715C: 85153C24
	s_mov_b64 exec, s[20:21]                                   // 000000007160: BEFE0114
	buffer_store_dword v73, v6, s[8:11], 0 offen               // 000000007164: E0701000 80024906
	buffer_store_dword v75, v6, s[8:11], 0 offen offset:128    // 00000000716C: E0701080 80024B06
	s_mov_b64 exec, s[36:37]                                   // 000000007174: BEFE0124
	v_mov_b32_e32 v6, v58                                      // 000000007178: 7E0C033A
	s_mov_b64 s[60:61], 0                                      // 00000000717C: BEBC0180
	v_readlane_b32 s82, v3, 8                                  // 000000007180: D2890052 00011103
	s_and_b32 s82, s82, 0xffffff                               // 000000007188: 8652FF52 00FFFFFF
	s_cmp_lt_u32 s82, s66                                      // 000000007190: BF0A4252
	s_cselect_b32 s20, s36, s60                                // 000000007194: 85143C24
	v_readlane_b32 s82, v3, 9                                  // 000000007198: D2890052 00011303
	s_and_b32 s82, s82, 0xffffff                               // 0000000071A0: 8652FF52 00FFFFFF
	s_cmp_lt_u32 s82, s66                                      // 0000000071A8: BF0A4252
	s_cselect_b32 s21, s36, s60                                // 0000000071AC: 85153C24
	s_mov_b64 exec, s[20:21]                                   // 0000000071B0: BEFE0114
	buffer_store_dword v76, v6, s[8:11], 0 offen               // 0000000071B4: E0701000 80024C06
	buffer_store_dword v78, v6, s[8:11], 0 offen offset:128    // 0000000071BC: E0701080 80024E06
	s_mov_b64 exec, s[36:37]                                   // 0000000071C4: BEFE0124
	v_mov_b32_e32 v6, v59                                      // 0000000071C8: 7E0C033B
	s_mov_b64 s[60:61], 0                                      // 0000000071CC: BEBC0180
	v_readlane_b32 s82, v3, 10                                 // 0000000071D0: D2890052 00011503
	s_and_b32 s82, s82, 0xffffff                               // 0000000071D8: 8652FF52 00FFFFFF
	s_cmp_lt_u32 s82, s66                                      // 0000000071E0: BF0A4252
	s_cselect_b32 s20, s36, s60                                // 0000000071E4: 85143C24
	v_readlane_b32 s82, v3, 11                                 // 0000000071E8: D2890052 00011703
	s_and_b32 s82, s82, 0xffffff                               // 0000000071F0: 8652FF52 00FFFFFF
	s_cmp_lt_u32 s82, s66                                      // 0000000071F8: BF0A4252
	s_cselect_b32 s21, s36, s60                                // 0000000071FC: 85153C24
	s_mov_b64 exec, s[20:21]                                   // 000000007200: BEFE0114
	buffer_store_dword v77, v6, s[8:11], 0 offen               // 000000007204: E0701000 80024D06
	buffer_store_dword v79, v6, s[8:11], 0 offen offset:128    // 00000000720C: E0701080 80024F06
	s_mov_b64 exec, s[36:37]                                   // 000000007214: BEFE0124
	v_mov_b32_e32 v6, v60                                      // 000000007218: 7E0C033C
	s_mov_b64 s[60:61], 0                                      // 00000000721C: BEBC0180
	v_readlane_b32 s82, v3, 12                                 // 000000007220: D2890052 00011903
	s_and_b32 s82, s82, 0xffffff                               // 000000007228: 8652FF52 00FFFFFF
	s_cmp_lt_u32 s82, s66                                      // 000000007230: BF0A4252
	s_cselect_b32 s20, s36, s60                                // 000000007234: 85143C24
	v_readlane_b32 s82, v3, 13                                 // 000000007238: D2890052 00011B03
	s_and_b32 s82, s82, 0xffffff                               // 000000007240: 8652FF52 00FFFFFF
	s_cmp_lt_u32 s82, s66                                      // 000000007248: BF0A4252
	s_cselect_b32 s21, s36, s60                                // 00000000724C: 85153C24
	s_mov_b64 exec, s[20:21]                                   // 000000007250: BEFE0114
	buffer_store_dword v80, v6, s[8:11], 0 offen               // 000000007254: E0701000 80025006
	buffer_store_dword v82, v6, s[8:11], 0 offen offset:128    // 00000000725C: E0701080 80025206
	s_mov_b64 exec, s[36:37]                                   // 000000007264: BEFE0124
	v_mov_b32_e32 v6, v61                                      // 000000007268: 7E0C033D
	s_mov_b64 s[60:61], 0                                      // 00000000726C: BEBC0180
	v_readlane_b32 s82, v3, 14                                 // 000000007270: D2890052 00011D03
	s_and_b32 s82, s82, 0xffffff                               // 000000007278: 8652FF52 00FFFFFF
	s_cmp_lt_u32 s82, s66                                      // 000000007280: BF0A4252
	s_cselect_b32 s20, s36, s60                                // 000000007284: 85143C24
	v_readlane_b32 s82, v3, 15                                 // 000000007288: D2890052 00011F03
	s_and_b32 s82, s82, 0xffffff                               // 000000007290: 8652FF52 00FFFFFF
	s_cmp_lt_u32 s82, s66                                      // 000000007298: BF0A4252
	s_cselect_b32 s21, s36, s60                                // 00000000729C: 85153C24
	s_mov_b64 exec, s[20:21]                                   // 0000000072A0: BEFE0114
	buffer_store_dword v81, v6, s[8:11], 0 offen               // 0000000072A4: E0701000 80025106
	buffer_store_dword v83, v6, s[8:11], 0 offen offset:128    // 0000000072AC: E0701080 80025306
	s_mov_b64 exec, s[36:37]                                   // 0000000072B4: BEFE0124
	v_mov_b32_e32 v6, v62                                      // 0000000072B8: 7E0C033E
	s_mov_b64 s[60:61], 0                                      // 0000000072BC: BEBC0180
	v_readlane_b32 s82, v3, 16                                 // 0000000072C0: D2890052 00012103
	s_and_b32 s82, s82, 0xffffff                               // 0000000072C8: 8652FF52 00FFFFFF
	s_cmp_lt_u32 s82, s66                                      // 0000000072D0: BF0A4252
	s_cselect_b32 s20, s36, s60                                // 0000000072D4: 85143C24
	v_readlane_b32 s82, v3, 17                                 // 0000000072D8: D2890052 00012303
	s_and_b32 s82, s82, 0xffffff                               // 0000000072E0: 8652FF52 00FFFFFF
	s_cmp_lt_u32 s82, s66                                      // 0000000072E8: BF0A4252
	s_cselect_b32 s21, s36, s60                                // 0000000072EC: 85153C24
	s_mov_b64 exec, s[20:21]                                   // 0000000072F0: BEFE0114
	buffer_store_dword v84, v6, s[8:11], 0 offen               // 0000000072F4: E0701000 80025406
	buffer_store_dword v86, v6, s[8:11], 0 offen offset:128    // 0000000072FC: E0701080 80025606
	s_mov_b64 exec, s[36:37]                                   // 000000007304: BEFE0124
	v_mov_b32_e32 v6, v63                                      // 000000007308: 7E0C033F
	s_mov_b64 s[60:61], 0                                      // 00000000730C: BEBC0180
	v_readlane_b32 s82, v3, 18                                 // 000000007310: D2890052 00012503
	s_and_b32 s82, s82, 0xffffff                               // 000000007318: 8652FF52 00FFFFFF
	s_cmp_lt_u32 s82, s66                                      // 000000007320: BF0A4252
	s_cselect_b32 s20, s36, s60                                // 000000007324: 85143C24
	v_readlane_b32 s82, v3, 19                                 // 000000007328: D2890052 00012703
	s_and_b32 s82, s82, 0xffffff                               // 000000007330: 8652FF52 00FFFFFF
	s_cmp_lt_u32 s82, s66                                      // 000000007338: BF0A4252
	s_cselect_b32 s21, s36, s60                                // 00000000733C: 85153C24
	s_mov_b64 exec, s[20:21]                                   // 000000007340: BEFE0114
	buffer_store_dword v85, v6, s[8:11], 0 offen               // 000000007344: E0701000 80025506
	buffer_store_dword v87, v6, s[8:11], 0 offen offset:128    // 00000000734C: E0701080 80025706
	s_mov_b64 exec, s[36:37]                                   // 000000007354: BEFE0124
	v_mov_b32_e32 v6, v64                                      // 000000007358: 7E0C0340
	s_mov_b64 s[60:61], 0                                      // 00000000735C: BEBC0180
	v_readlane_b32 s82, v3, 20                                 // 000000007360: D2890052 00012903
	s_and_b32 s82, s82, 0xffffff                               // 000000007368: 8652FF52 00FFFFFF
	s_cmp_lt_u32 s82, s66                                      // 000000007370: BF0A4252
	s_cselect_b32 s20, s36, s60                                // 000000007374: 85143C24
	v_readlane_b32 s82, v3, 21                                 // 000000007378: D2890052 00012B03
	s_and_b32 s82, s82, 0xffffff                               // 000000007380: 8652FF52 00FFFFFF
	s_cmp_lt_u32 s82, s66                                      // 000000007388: BF0A4252
	s_cselect_b32 s21, s36, s60                                // 00000000738C: 85153C24
	s_mov_b64 exec, s[20:21]                                   // 000000007390: BEFE0114
	buffer_store_dword v88, v6, s[8:11], 0 offen               // 000000007394: E0701000 80025806
	buffer_store_dword v90, v6, s[8:11], 0 offen offset:128    // 00000000739C: E0701080 80025A06
	s_mov_b64 exec, s[36:37]                                   // 0000000073A4: BEFE0124
	v_mov_b32_e32 v6, v65                                      // 0000000073A8: 7E0C0341
	s_mov_b64 s[60:61], 0                                      // 0000000073AC: BEBC0180
	v_readlane_b32 s82, v3, 22                                 // 0000000073B0: D2890052 00012D03
	s_and_b32 s82, s82, 0xffffff                               // 0000000073B8: 8652FF52 00FFFFFF
	s_cmp_lt_u32 s82, s66                                      // 0000000073C0: BF0A4252
	s_cselect_b32 s20, s36, s60                                // 0000000073C4: 85143C24
	v_readlane_b32 s82, v3, 23                                 // 0000000073C8: D2890052 00012F03
	s_and_b32 s82, s82, 0xffffff                               // 0000000073D0: 8652FF52 00FFFFFF
	s_cmp_lt_u32 s82, s66                                      // 0000000073D8: BF0A4252
	s_cselect_b32 s21, s36, s60                                // 0000000073DC: 85153C24
	s_mov_b64 exec, s[20:21]                                   // 0000000073E0: BEFE0114
	buffer_store_dword v89, v6, s[8:11], 0 offen               // 0000000073E4: E0701000 80025906
	buffer_store_dword v91, v6, s[8:11], 0 offen offset:128    // 0000000073EC: E0701080 80025B06
	s_mov_b64 exec, s[36:37]                                   // 0000000073F4: BEFE0124
	s_branch label_2E06                                        // 0000000073F8: BF821B84

00000000000073fc <label_127F>:
	ds_write_b64 v20, v[68:69]                                 // 0000000073FC: D89A0000 00004414
	ds_write_b64 v20, v[72:73] offset:4352                     // 000000007404: D89A1100 00004814
	ds_write_b64 v20, v[76:77] offset:8704                     // 00000000740C: D89A2200 00004C14
	ds_write_b64 v20, v[80:81] offset:13056                    // 000000007414: D89A3300 00005014
	ds_write_b64 v20, v[84:85] offset:17408                    // 00000000741C: D89A4400 00005414
	ds_write_b64 v20, v[88:89] offset:21760                    // 000000007424: D89A5500 00005814
	ds_write_b64 v20, v[92:93] offset:2176                     // 00000000742C: D89A0880 00005C14
	ds_write_b64 v20, v[96:97] offset:6528                     // 000000007434: D89A1980 00006014
	ds_write_b64 v20, v[100:101] offset:10880                  // 00000000743C: D89A2A80 00006414
	ds_write_b64 v20, v[104:105] offset:15232                  // 000000007444: D89A3B80 00006814
	ds_write_b64 v20, v[108:109] offset:19584                  // 00000000744C: D89A4C80 00006C14
	ds_write_b64 v20, v[112:113] offset:23936                  // 000000007454: D89A5D80 00007014
	v_lshrrev_b32_e32 v4, 5, v0                                // 00000000745C: 20080085
	v_xor_b32_e32 v5, 1, v4                                    // 000000007460: 2A0A0881
	s_mul_i32 s60, s65, 2                                      // 000000007464: 923C8241
	s_cmp_eq_u32 s88, 0                                        // 000000007468: BF068058
	s_cselect_b32 s61, 1, 4                                    // 00000000746C: 853D8481
	s_mul_i32 s60, s61, s60                                    // 000000007470: 923C3C3D
	v_readlane_b32 s82, v3, 0                                  // 000000007474: D2890052 00010103
	s_lshr_b32 s61, s82, 24                                    // 00000000747C: 8F3D9852
	s_and_b32 s82, s82, 0xffffff                               // 000000007480: 8652FF52 00FFFFFF
	s_mul_i32 s82, s82, s71                                    // 000000007488: 92524752
	s_mul_i32 s61, s60, s61                                    // 00000000748C: 923D3D3C
	s_add_u32 s82, s82, s61                                    // 000000007490: 80523D52
	v_mul_lo_u32 v6, v5, s82                                   // 000000007494: D2850006 0000A505
	v_readlane_b32 s82, v3, 1                                  // 00000000749C: D2890052 00010303
	s_lshr_b32 s61, s82, 24                                    // 0000000074A4: 8F3D9852
	s_and_b32 s82, s82, 0xffffff                               // 0000000074A8: 8652FF52 00FFFFFF
	s_mul_i32 s82, s82, s71                                    // 0000000074B0: 92524752
	s_mul_i32 s61, s60, s61                                    // 0000000074B4: 923D3D3C
	s_add_u32 s82, s82, s61                                    // 0000000074B8: 80523D52
	v_mul_lo_u32 v7, v4, s82                                   // 0000000074BC: D2850007 0000A504
	v_add_u32_e32 v54, v6, v7                                  // 0000000074C4: 686C0F06
	v_readlane_b32 s82, v3, 2                                  // 0000000074C8: D2890052 00010503
	s_lshr_b32 s61, s82, 24                                    // 0000000074D0: 8F3D9852
	s_and_b32 s82, s82, 0xffffff                               // 0000000074D4: 8652FF52 00FFFFFF
	s_mul_i32 s82, s82, s71                                    // 0000000074DC: 92524752
	s_mul_i32 s61, s60, s61                                    // 0000000074E0: 923D3D3C
	s_add_u32 s82, s82, s61                                    // 0000000074E4: 80523D52
	v_mul_lo_u32 v6, v5, s82                                   // 0000000074E8: D2850006 0000A505
	v_readlane_b32 s82, v3, 3                                  // 0000000074F0: D2890052 00010703
	s_lshr_b32 s61, s82, 24                                    // 0000000074F8: 8F3D9852
	s_and_b32 s82, s82, 0xffffff                               // 0000000074FC: 8652FF52 00FFFFFF
	s_mul_i32 s82, s82, s71                                    // 000000007504: 92524752
	s_mul_i32 s61, s60, s61                                    // 000000007508: 923D3D3C
	s_add_u32 s82, s82, s61                                    // 00000000750C: 80523D52
	v_mul_lo_u32 v7, v4, s82                                   // 000000007510: D2850007 0000A504
	v_add_u32_e32 v55, v6, v7                                  // 000000007518: 686E0F06
	v_readlane_b32 s82, v3, 4                                  // 00000000751C: D2890052 00010903
	s_lshr_b32 s61, s82, 24                                    // 000000007524: 8F3D9852
	s_and_b32 s82, s82, 0xffffff                               // 000000007528: 8652FF52 00FFFFFF
	s_mul_i32 s82, s82, s71                                    // 000000007530: 92524752
	s_mul_i32 s61, s60, s61                                    // 000000007534: 923D3D3C
	s_add_u32 s82, s82, s61                                    // 000000007538: 80523D52
	v_mul_lo_u32 v6, v5, s82                                   // 00000000753C: D2850006 0000A505
	v_readlane_b32 s82, v3, 5                                  // 000000007544: D2890052 00010B03
	s_lshr_b32 s61, s82, 24                                    // 00000000754C: 8F3D9852
	s_and_b32 s82, s82, 0xffffff                               // 000000007550: 8652FF52 00FFFFFF
	s_mul_i32 s82, s82, s71                                    // 000000007558: 92524752
	s_mul_i32 s61, s60, s61                                    // 00000000755C: 923D3D3C
	s_add_u32 s82, s82, s61                                    // 000000007560: 80523D52
	v_mul_lo_u32 v7, v4, s82                                   // 000000007564: D2850007 0000A504
	v_add_u32_e32 v56, v6, v7                                  // 00000000756C: 68700F06
	v_readlane_b32 s82, v3, 6                                  // 000000007570: D2890052 00010D03
	s_lshr_b32 s61, s82, 24                                    // 000000007578: 8F3D9852
	s_and_b32 s82, s82, 0xffffff                               // 00000000757C: 8652FF52 00FFFFFF
	s_mul_i32 s82, s82, s71                                    // 000000007584: 92524752
	s_mul_i32 s61, s60, s61                                    // 000000007588: 923D3D3C
	s_add_u32 s82, s82, s61                                    // 00000000758C: 80523D52
	v_mul_lo_u32 v6, v5, s82                                   // 000000007590: D2850006 0000A505
	v_readlane_b32 s82, v3, 7                                  // 000000007598: D2890052 00010F03
	s_lshr_b32 s61, s82, 24                                    // 0000000075A0: 8F3D9852
	s_and_b32 s82, s82, 0xffffff                               // 0000000075A4: 8652FF52 00FFFFFF
	s_mul_i32 s82, s82, s71                                    // 0000000075AC: 92524752
	s_mul_i32 s61, s60, s61                                    // 0000000075B0: 923D3D3C
	s_add_u32 s82, s82, s61                                    // 0000000075B4: 80523D52
	v_mul_lo_u32 v7, v4, s82                                   // 0000000075B8: D2850007 0000A504
	v_add_u32_e32 v57, v6, v7                                  // 0000000075C0: 68720F06
	v_readlane_b32 s82, v3, 8                                  // 0000000075C4: D2890052 00011103
	s_lshr_b32 s61, s82, 24                                    // 0000000075CC: 8F3D9852
	s_and_b32 s82, s82, 0xffffff                               // 0000000075D0: 8652FF52 00FFFFFF
	s_mul_i32 s82, s82, s71                                    // 0000000075D8: 92524752
	s_mul_i32 s61, s60, s61                                    // 0000000075DC: 923D3D3C
	s_add_u32 s82, s82, s61                                    // 0000000075E0: 80523D52
	v_mul_lo_u32 v6, v5, s82                                   // 0000000075E4: D2850006 0000A505
	v_readlane_b32 s82, v3, 9                                  // 0000000075EC: D2890052 00011303
	s_lshr_b32 s61, s82, 24                                    // 0000000075F4: 8F3D9852
	s_and_b32 s82, s82, 0xffffff                               // 0000000075F8: 8652FF52 00FFFFFF
	s_mul_i32 s82, s82, s71                                    // 000000007600: 92524752
	s_mul_i32 s61, s60, s61                                    // 000000007604: 923D3D3C
	s_add_u32 s82, s82, s61                                    // 000000007608: 80523D52
	v_mul_lo_u32 v7, v4, s82                                   // 00000000760C: D2850007 0000A504
	v_add_u32_e32 v58, v6, v7                                  // 000000007614: 68740F06
	v_readlane_b32 s82, v3, 10                                 // 000000007618: D2890052 00011503
	s_lshr_b32 s61, s82, 24                                    // 000000007620: 8F3D9852
	s_and_b32 s82, s82, 0xffffff                               // 000000007624: 8652FF52 00FFFFFF
	s_mul_i32 s82, s82, s71                                    // 00000000762C: 92524752
	s_mul_i32 s61, s60, s61                                    // 000000007630: 923D3D3C
	s_add_u32 s82, s82, s61                                    // 000000007634: 80523D52
	v_mul_lo_u32 v6, v5, s82                                   // 000000007638: D2850006 0000A505
	v_readlane_b32 s82, v3, 11                                 // 000000007640: D2890052 00011703
	s_lshr_b32 s61, s82, 24                                    // 000000007648: 8F3D9852
	s_and_b32 s82, s82, 0xffffff                               // 00000000764C: 8652FF52 00FFFFFF
	s_mul_i32 s82, s82, s71                                    // 000000007654: 92524752
	s_mul_i32 s61, s60, s61                                    // 000000007658: 923D3D3C
	s_add_u32 s82, s82, s61                                    // 00000000765C: 80523D52
	v_mul_lo_u32 v7, v4, s82                                   // 000000007660: D2850007 0000A504
	v_add_u32_e32 v59, v6, v7                                  // 000000007668: 68760F06
	v_readlane_b32 s82, v3, 12                                 // 00000000766C: D2890052 00011903
	s_lshr_b32 s61, s82, 24                                    // 000000007674: 8F3D9852
	s_and_b32 s82, s82, 0xffffff                               // 000000007678: 8652FF52 00FFFFFF
	s_mul_i32 s82, s82, s71                                    // 000000007680: 92524752
	s_mul_i32 s61, s60, s61                                    // 000000007684: 923D3D3C
	s_add_u32 s82, s82, s61                                    // 000000007688: 80523D52
	v_mul_lo_u32 v6, v5, s82                                   // 00000000768C: D2850006 0000A505
	v_readlane_b32 s82, v3, 13                                 // 000000007694: D2890052 00011B03
	s_lshr_b32 s61, s82, 24                                    // 00000000769C: 8F3D9852
	s_and_b32 s82, s82, 0xffffff                               // 0000000076A0: 8652FF52 00FFFFFF
	s_mul_i32 s82, s82, s71                                    // 0000000076A8: 92524752
	s_mul_i32 s61, s60, s61                                    // 0000000076AC: 923D3D3C
	s_add_u32 s82, s82, s61                                    // 0000000076B0: 80523D52
	v_mul_lo_u32 v7, v4, s82                                   // 0000000076B4: D2850007 0000A504
	v_add_u32_e32 v60, v6, v7                                  // 0000000076BC: 68780F06
	v_readlane_b32 s82, v3, 14                                 // 0000000076C0: D2890052 00011D03
	s_lshr_b32 s61, s82, 24                                    // 0000000076C8: 8F3D9852
	s_and_b32 s82, s82, 0xffffff                               // 0000000076CC: 8652FF52 00FFFFFF
	s_mul_i32 s82, s82, s71                                    // 0000000076D4: 92524752
	s_mul_i32 s61, s60, s61                                    // 0000000076D8: 923D3D3C
	s_add_u32 s82, s82, s61                                    // 0000000076DC: 80523D52
	v_mul_lo_u32 v6, v5, s82                                   // 0000000076E0: D2850006 0000A505
	v_readlane_b32 s82, v3, 15                                 // 0000000076E8: D2890052 00011F03
	s_lshr_b32 s61, s82, 24                                    // 0000000076F0: 8F3D9852
	s_and_b32 s82, s82, 0xffffff                               // 0000000076F4: 8652FF52 00FFFFFF
	s_mul_i32 s82, s82, s71                                    // 0000000076FC: 92524752
	s_mul_i32 s61, s60, s61                                    // 000000007700: 923D3D3C
	s_add_u32 s82, s82, s61                                    // 000000007704: 80523D52
	v_mul_lo_u32 v7, v4, s82                                   // 000000007708: D2850007 0000A504
	v_add_u32_e32 v61, v6, v7                                  // 000000007710: 687A0F06
	v_readlane_b32 s82, v3, 16                                 // 000000007714: D2890052 00012103
	s_lshr_b32 s61, s82, 24                                    // 00000000771C: 8F3D9852
	s_and_b32 s82, s82, 0xffffff                               // 000000007720: 8652FF52 00FFFFFF
	s_mul_i32 s82, s82, s71                                    // 000000007728: 92524752
	s_mul_i32 s61, s60, s61                                    // 00000000772C: 923D3D3C
	s_add_u32 s82, s82, s61                                    // 000000007730: 80523D52
	v_mul_lo_u32 v6, v5, s82                                   // 000000007734: D2850006 0000A505
	v_readlane_b32 s82, v3, 17                                 // 00000000773C: D2890052 00012303
	s_lshr_b32 s61, s82, 24                                    // 000000007744: 8F3D9852
	s_and_b32 s82, s82, 0xffffff                               // 000000007748: 8652FF52 00FFFFFF
	s_mul_i32 s82, s82, s71                                    // 000000007750: 92524752
	s_mul_i32 s61, s60, s61                                    // 000000007754: 923D3D3C
	s_add_u32 s82, s82, s61                                    // 000000007758: 80523D52
	v_mul_lo_u32 v7, v4, s82                                   // 00000000775C: D2850007 0000A504
	v_add_u32_e32 v62, v6, v7                                  // 000000007764: 687C0F06
	v_readlane_b32 s82, v3, 18                                 // 000000007768: D2890052 00012503
	s_lshr_b32 s61, s82, 24                                    // 000000007770: 8F3D9852
	s_and_b32 s82, s82, 0xffffff                               // 000000007774: 8652FF52 00FFFFFF
	s_mul_i32 s82, s82, s71                                    // 00000000777C: 92524752
	s_mul_i32 s61, s60, s61                                    // 000000007780: 923D3D3C
	s_add_u32 s82, s82, s61                                    // 000000007784: 80523D52
	v_mul_lo_u32 v6, v5, s82                                   // 000000007788: D2850006 0000A505
	v_readlane_b32 s82, v3, 19                                 // 000000007790: D2890052 00012703
	s_lshr_b32 s61, s82, 24                                    // 000000007798: 8F3D9852
	s_and_b32 s82, s82, 0xffffff                               // 00000000779C: 8652FF52 00FFFFFF
	s_mul_i32 s82, s82, s71                                    // 0000000077A4: 92524752
	s_mul_i32 s61, s60, s61                                    // 0000000077A8: 923D3D3C
	s_add_u32 s82, s82, s61                                    // 0000000077AC: 80523D52
	v_mul_lo_u32 v7, v4, s82                                   // 0000000077B0: D2850007 0000A504
	v_add_u32_e32 v63, v6, v7                                  // 0000000077B8: 687E0F06
	v_readlane_b32 s82, v3, 20                                 // 0000000077BC: D2890052 00012903
	s_lshr_b32 s61, s82, 24                                    // 0000000077C4: 8F3D9852
	s_and_b32 s82, s82, 0xffffff                               // 0000000077C8: 8652FF52 00FFFFFF
	s_mul_i32 s82, s82, s71                                    // 0000000077D0: 92524752
	s_mul_i32 s61, s60, s61                                    // 0000000077D4: 923D3D3C
	s_add_u32 s82, s82, s61                                    // 0000000077D8: 80523D52
	v_mul_lo_u32 v6, v5, s82                                   // 0000000077DC: D2850006 0000A505
	v_readlane_b32 s82, v3, 21                                 // 0000000077E4: D2890052 00012B03
	s_lshr_b32 s61, s82, 24                                    // 0000000077EC: 8F3D9852
	s_and_b32 s82, s82, 0xffffff                               // 0000000077F0: 8652FF52 00FFFFFF
	s_mul_i32 s82, s82, s71                                    // 0000000077F8: 92524752
	s_mul_i32 s61, s60, s61                                    // 0000000077FC: 923D3D3C
	s_add_u32 s82, s82, s61                                    // 000000007800: 80523D52
	v_mul_lo_u32 v7, v4, s82                                   // 000000007804: D2850007 0000A504
	v_add_u32_e32 v64, v6, v7                                  // 00000000780C: 68800F06
	v_readlane_b32 s82, v3, 22                                 // 000000007810: D2890052 00012D03
	s_lshr_b32 s61, s82, 24                                    // 000000007818: 8F3D9852
	s_and_b32 s82, s82, 0xffffff                               // 00000000781C: 8652FF52 00FFFFFF
	s_mul_i32 s82, s82, s71                                    // 000000007824: 92524752
	s_mul_i32 s61, s60, s61                                    // 000000007828: 923D3D3C
	s_add_u32 s82, s82, s61                                    // 00000000782C: 80523D52
	v_mul_lo_u32 v6, v5, s82                                   // 000000007830: D2850006 0000A505
	v_readlane_b32 s82, v3, 23                                 // 000000007838: D2890052 00012F03
	s_lshr_b32 s61, s82, 24                                    // 000000007840: 8F3D9852
	s_and_b32 s82, s82, 0xffffff                               // 000000007844: 8652FF52 00FFFFFF
	s_mul_i32 s82, s82, s71                                    // 00000000784C: 92524752
	s_mul_i32 s61, s60, s61                                    // 000000007850: 923D3D3C
	s_add_u32 s82, s82, s61                                    // 000000007854: 80523D52
	v_mul_lo_u32 v7, v4, s82                                   // 000000007858: D2850007 0000A504
	v_add_u32_e32 v65, v6, v7                                  // 000000007860: 68820F06
	v_and_b32_e32 v4, 31, v0                                   // 000000007864: 2608009F
	v_lshrrev_b32_e32 v4, 1, v4                                // 000000007868: 20080881
	s_cmp_eq_u32 s88, 0                                        // 00000000786C: BF068058
	s_cselect_b32 s61, 2, 4                                    // 000000007870: 853D8482
	v_mul_lo_u32 v4, v4, s61                                   // 000000007874: D2850004 00007B04
	v_and_b32_e64 v5, v0, 1                                    // 00000000787C: D1130005 00010300
	v_add_u32_e32 v4, v4, v5                                   // 000000007884: 68080B04
	v_lshlrev_b32_e32 v4, 2, v4                                // 000000007888: 24080882
	v_add_u32_e32 v54, v54, v4                                 // 00000000788C: 686C0936
	v_add_u32_e32 v55, v55, v4                                 // 000000007890: 686E0937
	v_add_u32_e32 v56, v56, v4                                 // 000000007894: 68700938
	v_add_u32_e32 v57, v57, v4                                 // 000000007898: 68720939
	v_add_u32_e32 v58, v58, v4                                 // 00000000789C: 6874093A
	v_add_u32_e32 v59, v59, v4                                 // 0000000078A0: 6876093B
	v_add_u32_e32 v60, v60, v4                                 // 0000000078A4: 6878093C
	v_add_u32_e32 v61, v61, v4                                 // 0000000078A8: 687A093D
	v_add_u32_e32 v62, v62, v4                                 // 0000000078AC: 687C093E
	v_add_u32_e32 v63, v63, v4                                 // 0000000078B0: 687E093F
	v_add_u32_e32 v64, v64, v4                                 // 0000000078B4: 68800940
	v_add_u32_e32 v65, v65, v4                                 // 0000000078B8: 68820941
	s_waitcnt lgkmcnt(0)                                       // 0000000078BC: BF8CC07F
	s_barrier                                                  // 0000000078C0: BF8A0000
	ds_read_b32 v68, v21                                       // 0000000078C4: D86C0000 44000015
	ds_read_b32 v69, v21 offset:64                             // 0000000078CC: D86C0040 45000015
	ds_read_b32 v72, v21 offset:2176                           // 0000000078D4: D86C0880 48000015
	ds_read_b32 v73, v21 offset:2240                           // 0000000078DC: D86C08C0 49000015
	ds_read_b32 v76, v21 offset:4352                           // 0000000078E4: D86C1100 4C000015
	ds_read_b32 v77, v21 offset:4416                           // 0000000078EC: D86C1140 4D000015
	ds_read_b32 v80, v21 offset:6528                           // 0000000078F4: D86C1980 50000015
	ds_read_b32 v81, v21 offset:6592                           // 0000000078FC: D86C19C0 51000015
	ds_read_b32 v84, v21 offset:8704                           // 000000007904: D86C2200 54000015
	ds_read_b32 v85, v21 offset:8768                           // 00000000790C: D86C2240 55000015
	ds_read_b32 v88, v21 offset:10880                          // 000000007914: D86C2A80 58000015
	ds_read_b32 v89, v21 offset:10944                          // 00000000791C: D86C2AC0 59000015
	ds_read_b32 v92, v21 offset:13056                          // 000000007924: D86C3300 5C000015
	ds_read_b32 v93, v21 offset:13120                          // 00000000792C: D86C3340 5D000015
	ds_read_b32 v96, v21 offset:15232                          // 000000007934: D86C3B80 60000015
	ds_read_b32 v97, v21 offset:15296                          // 00000000793C: D86C3BC0 61000015
	ds_read_b32 v100, v21 offset:17408                         // 000000007944: D86C4400 64000015
	ds_read_b32 v101, v21 offset:17472                         // 00000000794C: D86C4440 65000015
	ds_read_b32 v104, v21 offset:19584                         // 000000007954: D86C4C80 68000015
	ds_read_b32 v105, v21 offset:19648                         // 00000000795C: D86C4CC0 69000015
	ds_read_b32 v108, v21 offset:21760                         // 000000007964: D86C5500 6C000015
	ds_read_b32 v109, v21 offset:21824                         // 00000000796C: D86C5540 6D000015
	ds_read_b32 v112, v21 offset:23936                         // 000000007974: D86C5D80 70000015
	ds_read_b32 v113, v21 offset:24000                         // 00000000797C: D86C5DC0 71000015
	s_waitcnt lgkmcnt(0)                                       // 000000007984: BF8CC07F
	s_mov_b32 s36, -1                                          // 000000007988: BEA400C1
	s_mov_b32 s37, -1                                          // 00000000798C: BEA500C1
	v_mov_b32_e32 v7, 0                                        // 000000007990: 7E0E0280
	s_mov_b64 exec, s[36:37]                                   // 000000007994: BEFE0124
	v_mov_b32_e32 v6, v54                                      // 000000007998: 7E0C0336
	s_mov_b64 s[60:61], 0                                      // 00000000799C: BEBC0180
	v_readlane_b32 s82, v3, 0                                  // 0000000079A0: D2890052 00010103
	s_and_b32 s82, s82, 0xffffff                               // 0000000079A8: 8652FF52 00FFFFFF
	s_cmp_lt_u32 s82, s66                                      // 0000000079B0: BF0A4252
	s_cselect_b32 s20, s36, s60                                // 0000000079B4: 85143C24
	v_readlane_b32 s82, v3, 1                                  // 0000000079B8: D2890052 00010303
	s_and_b32 s82, s82, 0xffffff                               // 0000000079C0: 8652FF52 00FFFFFF
	s_cmp_lt_u32 s82, s66                                      // 0000000079C8: BF0A4252
	s_cselect_b32 s21, s36, s60                                // 0000000079CC: 85153C24
	s_mov_b64 exec, s[20:21]                                   // 0000000079D0: BEFE0114
	global_atomic_add_f32 v6, v68, s[8:9]                      // 0000000079D4: DD348000 00084406
	global_atomic_add_f32 v6, v72, s[8:9] offset:256           // 0000000079DC: DD348100 00084806
	s_mov_b64 exec, s[36:37]                                   // 0000000079E4: BEFE0124
	v_mov_b32_e32 v6, v55                                      // 0000000079E8: 7E0C0337
	s_mov_b64 s[60:61], 0                                      // 0000000079EC: BEBC0180
	v_readlane_b32 s82, v3, 2                                  // 0000000079F0: D2890052 00010503
	s_and_b32 s82, s82, 0xffffff                               // 0000000079F8: 8652FF52 00FFFFFF
	s_cmp_lt_u32 s82, s66                                      // 000000007A00: BF0A4252
	s_cselect_b32 s20, s36, s60                                // 000000007A04: 85143C24
	v_readlane_b32 s82, v3, 3                                  // 000000007A08: D2890052 00010703
	s_and_b32 s82, s82, 0xffffff                               // 000000007A10: 8652FF52 00FFFFFF
	s_cmp_lt_u32 s82, s66                                      // 000000007A18: BF0A4252
	s_cselect_b32 s21, s36, s60                                // 000000007A1C: 85153C24
	s_mov_b64 exec, s[20:21]                                   // 000000007A20: BEFE0114
	global_atomic_add_f32 v6, v69, s[8:9]                      // 000000007A24: DD348000 00084506
	global_atomic_add_f32 v6, v73, s[8:9] offset:256           // 000000007A2C: DD348100 00084906
	s_mov_b64 exec, s[36:37]                                   // 000000007A34: BEFE0124
	v_mov_b32_e32 v6, v56                                      // 000000007A38: 7E0C0338
	s_mov_b64 s[60:61], 0                                      // 000000007A3C: BEBC0180
	v_readlane_b32 s82, v3, 4                                  // 000000007A40: D2890052 00010903
	s_and_b32 s82, s82, 0xffffff                               // 000000007A48: 8652FF52 00FFFFFF
	s_cmp_lt_u32 s82, s66                                      // 000000007A50: BF0A4252
	s_cselect_b32 s20, s36, s60                                // 000000007A54: 85143C24
	v_readlane_b32 s82, v3, 5                                  // 000000007A58: D2890052 00010B03
	s_and_b32 s82, s82, 0xffffff                               // 000000007A60: 8652FF52 00FFFFFF
	s_cmp_lt_u32 s82, s66                                      // 000000007A68: BF0A4252
	s_cselect_b32 s21, s36, s60                                // 000000007A6C: 85153C24
	s_mov_b64 exec, s[20:21]                                   // 000000007A70: BEFE0114
	global_atomic_add_f32 v6, v76, s[8:9]                      // 000000007A74: DD348000 00084C06
	global_atomic_add_f32 v6, v80, s[8:9] offset:256           // 000000007A7C: DD348100 00085006
	s_mov_b64 exec, s[36:37]                                   // 000000007A84: BEFE0124
	v_mov_b32_e32 v6, v57                                      // 000000007A88: 7E0C0339
	s_mov_b64 s[60:61], 0                                      // 000000007A8C: BEBC0180
	v_readlane_b32 s82, v3, 6                                  // 000000007A90: D2890052 00010D03
	s_and_b32 s82, s82, 0xffffff                               // 000000007A98: 8652FF52 00FFFFFF
	s_cmp_lt_u32 s82, s66                                      // 000000007AA0: BF0A4252
	s_cselect_b32 s20, s36, s60                                // 000000007AA4: 85143C24
	v_readlane_b32 s82, v3, 7                                  // 000000007AA8: D2890052 00010F03
	s_and_b32 s82, s82, 0xffffff                               // 000000007AB0: 8652FF52 00FFFFFF
	s_cmp_lt_u32 s82, s66                                      // 000000007AB8: BF0A4252
	s_cselect_b32 s21, s36, s60                                // 000000007ABC: 85153C24
	s_mov_b64 exec, s[20:21]                                   // 000000007AC0: BEFE0114
	global_atomic_add_f32 v6, v77, s[8:9]                      // 000000007AC4: DD348000 00084D06
	global_atomic_add_f32 v6, v81, s[8:9] offset:256           // 000000007ACC: DD348100 00085106
	s_mov_b64 exec, s[36:37]                                   // 000000007AD4: BEFE0124
	v_mov_b32_e32 v6, v58                                      // 000000007AD8: 7E0C033A
	s_mov_b64 s[60:61], 0                                      // 000000007ADC: BEBC0180
	v_readlane_b32 s82, v3, 8                                  // 000000007AE0: D2890052 00011103
	s_and_b32 s82, s82, 0xffffff                               // 000000007AE8: 8652FF52 00FFFFFF
	s_cmp_lt_u32 s82, s66                                      // 000000007AF0: BF0A4252
	s_cselect_b32 s20, s36, s60                                // 000000007AF4: 85143C24
	v_readlane_b32 s82, v3, 9                                  // 000000007AF8: D2890052 00011303
	s_and_b32 s82, s82, 0xffffff                               // 000000007B00: 8652FF52 00FFFFFF
	s_cmp_lt_u32 s82, s66                                      // 000000007B08: BF0A4252
	s_cselect_b32 s21, s36, s60                                // 000000007B0C: 85153C24
	s_mov_b64 exec, s[20:21]                                   // 000000007B10: BEFE0114
	global_atomic_add_f32 v6, v84, s[8:9]                      // 000000007B14: DD348000 00085406
	global_atomic_add_f32 v6, v88, s[8:9] offset:256           // 000000007B1C: DD348100 00085806
	s_mov_b64 exec, s[36:37]                                   // 000000007B24: BEFE0124
	v_mov_b32_e32 v6, v59                                      // 000000007B28: 7E0C033B
	s_mov_b64 s[60:61], 0                                      // 000000007B2C: BEBC0180
	v_readlane_b32 s82, v3, 10                                 // 000000007B30: D2890052 00011503
	s_and_b32 s82, s82, 0xffffff                               // 000000007B38: 8652FF52 00FFFFFF
	s_cmp_lt_u32 s82, s66                                      // 000000007B40: BF0A4252
	s_cselect_b32 s20, s36, s60                                // 000000007B44: 85143C24
	v_readlane_b32 s82, v3, 11                                 // 000000007B48: D2890052 00011703
	s_and_b32 s82, s82, 0xffffff                               // 000000007B50: 8652FF52 00FFFFFF
	s_cmp_lt_u32 s82, s66                                      // 000000007B58: BF0A4252
	s_cselect_b32 s21, s36, s60                                // 000000007B5C: 85153C24
	s_mov_b64 exec, s[20:21]                                   // 000000007B60: BEFE0114
	global_atomic_add_f32 v6, v85, s[8:9]                      // 000000007B64: DD348000 00085506
	global_atomic_add_f32 v6, v89, s[8:9] offset:256           // 000000007B6C: DD348100 00085906
	s_mov_b64 exec, s[36:37]                                   // 000000007B74: BEFE0124
	v_mov_b32_e32 v6, v60                                      // 000000007B78: 7E0C033C
	s_mov_b64 s[60:61], 0                                      // 000000007B7C: BEBC0180
	v_readlane_b32 s82, v3, 12                                 // 000000007B80: D2890052 00011903
	s_and_b32 s82, s82, 0xffffff                               // 000000007B88: 8652FF52 00FFFFFF
	s_cmp_lt_u32 s82, s66                                      // 000000007B90: BF0A4252
	s_cselect_b32 s20, s36, s60                                // 000000007B94: 85143C24
	v_readlane_b32 s82, v3, 13                                 // 000000007B98: D2890052 00011B03
	s_and_b32 s82, s82, 0xffffff                               // 000000007BA0: 8652FF52 00FFFFFF
	s_cmp_lt_u32 s82, s66                                      // 000000007BA8: BF0A4252
	s_cselect_b32 s21, s36, s60                                // 000000007BAC: 85153C24
	s_mov_b64 exec, s[20:21]                                   // 000000007BB0: BEFE0114
	global_atomic_add_f32 v6, v92, s[8:9]                      // 000000007BB4: DD348000 00085C06
	global_atomic_add_f32 v6, v96, s[8:9] offset:256           // 000000007BBC: DD348100 00086006
	s_mov_b64 exec, s[36:37]                                   // 000000007BC4: BEFE0124
	v_mov_b32_e32 v6, v61                                      // 000000007BC8: 7E0C033D
	s_mov_b64 s[60:61], 0                                      // 000000007BCC: BEBC0180
	v_readlane_b32 s82, v3, 14                                 // 000000007BD0: D2890052 00011D03
	s_and_b32 s82, s82, 0xffffff                               // 000000007BD8: 8652FF52 00FFFFFF
	s_cmp_lt_u32 s82, s66                                      // 000000007BE0: BF0A4252
	s_cselect_b32 s20, s36, s60                                // 000000007BE4: 85143C24
	v_readlane_b32 s82, v3, 15                                 // 000000007BE8: D2890052 00011F03
	s_and_b32 s82, s82, 0xffffff                               // 000000007BF0: 8652FF52 00FFFFFF
	s_cmp_lt_u32 s82, s66                                      // 000000007BF8: BF0A4252
	s_cselect_b32 s21, s36, s60                                // 000000007BFC: 85153C24
	s_mov_b64 exec, s[20:21]                                   // 000000007C00: BEFE0114
	global_atomic_add_f32 v6, v93, s[8:9]                      // 000000007C04: DD348000 00085D06
	global_atomic_add_f32 v6, v97, s[8:9] offset:256           // 000000007C0C: DD348100 00086106
	s_mov_b64 exec, s[36:37]                                   // 000000007C14: BEFE0124
	v_mov_b32_e32 v6, v62                                      // 000000007C18: 7E0C033E
	s_mov_b64 s[60:61], 0                                      // 000000007C1C: BEBC0180
	v_readlane_b32 s82, v3, 16                                 // 000000007C20: D2890052 00012103
	s_and_b32 s82, s82, 0xffffff                               // 000000007C28: 8652FF52 00FFFFFF
	s_cmp_lt_u32 s82, s66                                      // 000000007C30: BF0A4252
	s_cselect_b32 s20, s36, s60                                // 000000007C34: 85143C24
	v_readlane_b32 s82, v3, 17                                 // 000000007C38: D2890052 00012303
	s_and_b32 s82, s82, 0xffffff                               // 000000007C40: 8652FF52 00FFFFFF
	s_cmp_lt_u32 s82, s66                                      // 000000007C48: BF0A4252
	s_cselect_b32 s21, s36, s60                                // 000000007C4C: 85153C24
	s_mov_b64 exec, s[20:21]                                   // 000000007C50: BEFE0114
	global_atomic_add_f32 v6, v100, s[8:9]                     // 000000007C54: DD348000 00086406
	global_atomic_add_f32 v6, v104, s[8:9] offset:256          // 000000007C5C: DD348100 00086806
	s_mov_b64 exec, s[36:37]                                   // 000000007C64: BEFE0124
	v_mov_b32_e32 v6, v63                                      // 000000007C68: 7E0C033F
	s_mov_b64 s[60:61], 0                                      // 000000007C6C: BEBC0180
	v_readlane_b32 s82, v3, 18                                 // 000000007C70: D2890052 00012503
	s_and_b32 s82, s82, 0xffffff                               // 000000007C78: 8652FF52 00FFFFFF
	s_cmp_lt_u32 s82, s66                                      // 000000007C80: BF0A4252
	s_cselect_b32 s20, s36, s60                                // 000000007C84: 85143C24
	v_readlane_b32 s82, v3, 19                                 // 000000007C88: D2890052 00012703
	s_and_b32 s82, s82, 0xffffff                               // 000000007C90: 8652FF52 00FFFFFF
	s_cmp_lt_u32 s82, s66                                      // 000000007C98: BF0A4252
	s_cselect_b32 s21, s36, s60                                // 000000007C9C: 85153C24
	s_mov_b64 exec, s[20:21]                                   // 000000007CA0: BEFE0114
	global_atomic_add_f32 v6, v101, s[8:9]                     // 000000007CA4: DD348000 00086506
	global_atomic_add_f32 v6, v105, s[8:9] offset:256          // 000000007CAC: DD348100 00086906
	s_mov_b64 exec, s[36:37]                                   // 000000007CB4: BEFE0124
	v_mov_b32_e32 v6, v64                                      // 000000007CB8: 7E0C0340
	s_mov_b64 s[60:61], 0                                      // 000000007CBC: BEBC0180
	v_readlane_b32 s82, v3, 20                                 // 000000007CC0: D2890052 00012903
	s_and_b32 s82, s82, 0xffffff                               // 000000007CC8: 8652FF52 00FFFFFF
	s_cmp_lt_u32 s82, s66                                      // 000000007CD0: BF0A4252
	s_cselect_b32 s20, s36, s60                                // 000000007CD4: 85143C24
	v_readlane_b32 s82, v3, 21                                 // 000000007CD8: D2890052 00012B03
	s_and_b32 s82, s82, 0xffffff                               // 000000007CE0: 8652FF52 00FFFFFF
	s_cmp_lt_u32 s82, s66                                      // 000000007CE8: BF0A4252
	s_cselect_b32 s21, s36, s60                                // 000000007CEC: 85153C24
	s_mov_b64 exec, s[20:21]                                   // 000000007CF0: BEFE0114
	global_atomic_add_f32 v6, v108, s[8:9]                     // 000000007CF4: DD348000 00086C06
	global_atomic_add_f32 v6, v112, s[8:9] offset:256          // 000000007CFC: DD348100 00087006
	s_mov_b64 exec, s[36:37]                                   // 000000007D04: BEFE0124
	v_mov_b32_e32 v6, v65                                      // 000000007D08: 7E0C0341
	s_mov_b64 s[60:61], 0                                      // 000000007D0C: BEBC0180
	v_readlane_b32 s82, v3, 22                                 // 000000007D10: D2890052 00012D03
	s_and_b32 s82, s82, 0xffffff                               // 000000007D18: 8652FF52 00FFFFFF
	s_cmp_lt_u32 s82, s66                                      // 000000007D20: BF0A4252
	s_cselect_b32 s20, s36, s60                                // 000000007D24: 85143C24
	v_readlane_b32 s82, v3, 23                                 // 000000007D28: D2890052 00012F03
	s_and_b32 s82, s82, 0xffffff                               // 000000007D30: 8652FF52 00FFFFFF
	s_cmp_lt_u32 s82, s66                                      // 000000007D38: BF0A4252
	s_cselect_b32 s21, s36, s60                                // 000000007D3C: 85153C24
	s_mov_b64 exec, s[20:21]                                   // 000000007D40: BEFE0114
	global_atomic_add_f32 v6, v109, s[8:9]                     // 000000007D44: DD348000 00086D06
	global_atomic_add_f32 v6, v113, s[8:9] offset:256          // 000000007D4C: DD348100 00087106
	s_mov_b64 exec, s[36:37]                                   // 000000007D54: BEFE0124
	ds_write_b64 v20, v[70:71]                                 // 000000007D58: D89A0000 00004614
	ds_write_b64 v20, v[74:75] offset:4352                     // 000000007D60: D89A1100 00004A14
	ds_write_b64 v20, v[78:79] offset:8704                     // 000000007D68: D89A2200 00004E14
	ds_write_b64 v20, v[82:83] offset:13056                    // 000000007D70: D89A3300 00005214
	ds_write_b64 v20, v[86:87] offset:17408                    // 000000007D78: D89A4400 00005614
	ds_write_b64 v20, v[90:91] offset:21760                    // 000000007D80: D89A5500 00005A14
	ds_write_b64 v20, v[94:95] offset:2176                     // 000000007D88: D89A0880 00005E14
	ds_write_b64 v20, v[98:99] offset:6528                     // 000000007D90: D89A1980 00006214
	ds_write_b64 v20, v[102:103] offset:10880                  // 000000007D98: D89A2A80 00006614
	ds_write_b64 v20, v[106:107] offset:15232                  // 000000007DA0: D89A3B80 00006A14
	ds_write_b64 v20, v[110:111] offset:19584                  // 000000007DA8: D89A4C80 00006E14
	ds_write_b64 v20, v[114:115] offset:23936                  // 000000007DB0: D89A5D80 00007214
	s_waitcnt lgkmcnt(0)                                       // 000000007DB8: BF8CC07F
	s_barrier                                                  // 000000007DBC: BF8A0000
	ds_read_b32 v70, v21                                       // 000000007DC0: D86C0000 46000015
	ds_read_b32 v71, v21 offset:64                             // 000000007DC8: D86C0040 47000015
	ds_read_b32 v74, v21 offset:2176                           // 000000007DD0: D86C0880 4A000015
	ds_read_b32 v75, v21 offset:2240                           // 000000007DD8: D86C08C0 4B000015
	ds_read_b32 v78, v21 offset:4352                           // 000000007DE0: D86C1100 4E000015
	ds_read_b32 v79, v21 offset:4416                           // 000000007DE8: D86C1140 4F000015
	ds_read_b32 v82, v21 offset:6528                           // 000000007DF0: D86C1980 52000015
	ds_read_b32 v83, v21 offset:6592                           // 000000007DF8: D86C19C0 53000015
	ds_read_b32 v86, v21 offset:8704                           // 000000007E00: D86C2200 56000015
	ds_read_b32 v87, v21 offset:8768                           // 000000007E08: D86C2240 57000015
	ds_read_b32 v90, v21 offset:10880                          // 000000007E10: D86C2A80 5A000015
	ds_read_b32 v91, v21 offset:10944                          // 000000007E18: D86C2AC0 5B000015
	ds_read_b32 v94, v21 offset:13056                          // 000000007E20: D86C3300 5E000015
	ds_read_b32 v95, v21 offset:13120                          // 000000007E28: D86C3340 5F000015
	ds_read_b32 v98, v21 offset:15232                          // 000000007E30: D86C3B80 62000015
	ds_read_b32 v99, v21 offset:15296                          // 000000007E38: D86C3BC0 63000015
	ds_read_b32 v102, v21 offset:17408                         // 000000007E40: D86C4400 66000015
	ds_read_b32 v103, v21 offset:17472                         // 000000007E48: D86C4440 67000015
	ds_read_b32 v106, v21 offset:19584                         // 000000007E50: D86C4C80 6A000015
	ds_read_b32 v107, v21 offset:19648                         // 000000007E58: D86C4CC0 6B000015
	ds_read_b32 v110, v21 offset:21760                         // 000000007E60: D86C5500 6E000015
	ds_read_b32 v111, v21 offset:21824                         // 000000007E68: D86C5540 6F000015
	ds_read_b32 v114, v21 offset:23936                         // 000000007E70: D86C5D80 72000015
	ds_read_b32 v115, v21 offset:24000                         // 000000007E78: D86C5DC0 73000015
	s_waitcnt lgkmcnt(0)                                       // 000000007E80: BF8CC07F
	v_mov_b32_e32 v7, 0                                        // 000000007E84: 7E0E0280
	s_mov_b64 exec, s[36:37]                                   // 000000007E88: BEFE0124
	v_mov_b32_e32 v6, v54                                      // 000000007E8C: 7E0C0336
	s_mov_b64 s[60:61], 0                                      // 000000007E90: BEBC0180
	v_readlane_b32 s82, v3, 0                                  // 000000007E94: D2890052 00010103
	s_and_b32 s82, s82, 0xffffff                               // 000000007E9C: 8652FF52 00FFFFFF
	s_cmp_lt_u32 s82, s66                                      // 000000007EA4: BF0A4252
	s_cselect_b32 s20, s36, s60                                // 000000007EA8: 85143C24
	v_readlane_b32 s82, v3, 1                                  // 000000007EAC: D2890052 00010303
	s_and_b32 s82, s82, 0xffffff                               // 000000007EB4: 8652FF52 00FFFFFF
	s_cmp_lt_u32 s82, s66                                      // 000000007EBC: BF0A4252
	s_cselect_b32 s21, s36, s60                                // 000000007EC0: 85153C24
	s_mov_b64 exec, s[20:21]                                   // 000000007EC4: BEFE0114
	global_atomic_add_f32 v6, v70, s[8:9] offset:8             // 000000007EC8: DD348008 00084606
	global_atomic_add_f32 v6, v74, s[8:9] offset:264           // 000000007ED0: DD348108 00084A06
	s_mov_b64 exec, s[36:37]                                   // 000000007ED8: BEFE0124
	v_mov_b32_e32 v6, v55                                      // 000000007EDC: 7E0C0337
	s_mov_b64 s[60:61], 0                                      // 000000007EE0: BEBC0180
	v_readlane_b32 s82, v3, 2                                  // 000000007EE4: D2890052 00010503
	s_and_b32 s82, s82, 0xffffff                               // 000000007EEC: 8652FF52 00FFFFFF
	s_cmp_lt_u32 s82, s66                                      // 000000007EF4: BF0A4252
	s_cselect_b32 s20, s36, s60                                // 000000007EF8: 85143C24
	v_readlane_b32 s82, v3, 3                                  // 000000007EFC: D2890052 00010703
	s_and_b32 s82, s82, 0xffffff                               // 000000007F04: 8652FF52 00FFFFFF
	s_cmp_lt_u32 s82, s66                                      // 000000007F0C: BF0A4252
	s_cselect_b32 s21, s36, s60                                // 000000007F10: 85153C24
	s_mov_b64 exec, s[20:21]                                   // 000000007F14: BEFE0114
	global_atomic_add_f32 v6, v71, s[8:9] offset:8             // 000000007F18: DD348008 00084706
	global_atomic_add_f32 v6, v75, s[8:9] offset:264           // 000000007F20: DD348108 00084B06
	s_mov_b64 exec, s[36:37]                                   // 000000007F28: BEFE0124
	v_mov_b32_e32 v6, v56                                      // 000000007F2C: 7E0C0338
	s_mov_b64 s[60:61], 0                                      // 000000007F30: BEBC0180
	v_readlane_b32 s82, v3, 4                                  // 000000007F34: D2890052 00010903
	s_and_b32 s82, s82, 0xffffff                               // 000000007F3C: 8652FF52 00FFFFFF
	s_cmp_lt_u32 s82, s66                                      // 000000007F44: BF0A4252
	s_cselect_b32 s20, s36, s60                                // 000000007F48: 85143C24
	v_readlane_b32 s82, v3, 5                                  // 000000007F4C: D2890052 00010B03
	s_and_b32 s82, s82, 0xffffff                               // 000000007F54: 8652FF52 00FFFFFF
	s_cmp_lt_u32 s82, s66                                      // 000000007F5C: BF0A4252
	s_cselect_b32 s21, s36, s60                                // 000000007F60: 85153C24
	s_mov_b64 exec, s[20:21]                                   // 000000007F64: BEFE0114
	global_atomic_add_f32 v6, v78, s[8:9] offset:8             // 000000007F68: DD348008 00084E06
	global_atomic_add_f32 v6, v82, s[8:9] offset:264           // 000000007F70: DD348108 00085206
	s_mov_b64 exec, s[36:37]                                   // 000000007F78: BEFE0124
	v_mov_b32_e32 v6, v57                                      // 000000007F7C: 7E0C0339
	s_mov_b64 s[60:61], 0                                      // 000000007F80: BEBC0180
	v_readlane_b32 s82, v3, 6                                  // 000000007F84: D2890052 00010D03
	s_and_b32 s82, s82, 0xffffff                               // 000000007F8C: 8652FF52 00FFFFFF
	s_cmp_lt_u32 s82, s66                                      // 000000007F94: BF0A4252
	s_cselect_b32 s20, s36, s60                                // 000000007F98: 85143C24
	v_readlane_b32 s82, v3, 7                                  // 000000007F9C: D2890052 00010F03
	s_and_b32 s82, s82, 0xffffff                               // 000000007FA4: 8652FF52 00FFFFFF
	s_cmp_lt_u32 s82, s66                                      // 000000007FAC: BF0A4252
	s_cselect_b32 s21, s36, s60                                // 000000007FB0: 85153C24
	s_mov_b64 exec, s[20:21]                                   // 000000007FB4: BEFE0114
	global_atomic_add_f32 v6, v79, s[8:9] offset:8             // 000000007FB8: DD348008 00084F06
	global_atomic_add_f32 v6, v83, s[8:9] offset:264           // 000000007FC0: DD348108 00085306
	s_mov_b64 exec, s[36:37]                                   // 000000007FC8: BEFE0124
	v_mov_b32_e32 v6, v58                                      // 000000007FCC: 7E0C033A
	s_mov_b64 s[60:61], 0                                      // 000000007FD0: BEBC0180
	v_readlane_b32 s82, v3, 8                                  // 000000007FD4: D2890052 00011103
	s_and_b32 s82, s82, 0xffffff                               // 000000007FDC: 8652FF52 00FFFFFF
	s_cmp_lt_u32 s82, s66                                      // 000000007FE4: BF0A4252
	s_cselect_b32 s20, s36, s60                                // 000000007FE8: 85143C24
	v_readlane_b32 s82, v3, 9                                  // 000000007FEC: D2890052 00011303
	s_and_b32 s82, s82, 0xffffff                               // 000000007FF4: 8652FF52 00FFFFFF
	s_cmp_lt_u32 s82, s66                                      // 000000007FFC: BF0A4252
	s_cselect_b32 s21, s36, s60                                // 000000008000: 85153C24
	s_mov_b64 exec, s[20:21]                                   // 000000008004: BEFE0114
	global_atomic_add_f32 v6, v86, s[8:9] offset:8             // 000000008008: DD348008 00085606
	global_atomic_add_f32 v6, v90, s[8:9] offset:264           // 000000008010: DD348108 00085A06
	s_mov_b64 exec, s[36:37]                                   // 000000008018: BEFE0124
	v_mov_b32_e32 v6, v59                                      // 00000000801C: 7E0C033B
	s_mov_b64 s[60:61], 0                                      // 000000008020: BEBC0180
	v_readlane_b32 s82, v3, 10                                 // 000000008024: D2890052 00011503
	s_and_b32 s82, s82, 0xffffff                               // 00000000802C: 8652FF52 00FFFFFF
	s_cmp_lt_u32 s82, s66                                      // 000000008034: BF0A4252
	s_cselect_b32 s20, s36, s60                                // 000000008038: 85143C24
	v_readlane_b32 s82, v3, 11                                 // 00000000803C: D2890052 00011703
	s_and_b32 s82, s82, 0xffffff                               // 000000008044: 8652FF52 00FFFFFF
	s_cmp_lt_u32 s82, s66                                      // 00000000804C: BF0A4252
	s_cselect_b32 s21, s36, s60                                // 000000008050: 85153C24
	s_mov_b64 exec, s[20:21]                                   // 000000008054: BEFE0114
	global_atomic_add_f32 v6, v87, s[8:9] offset:8             // 000000008058: DD348008 00085706
	global_atomic_add_f32 v6, v91, s[8:9] offset:264           // 000000008060: DD348108 00085B06
	s_mov_b64 exec, s[36:37]                                   // 000000008068: BEFE0124
	v_mov_b32_e32 v6, v60                                      // 00000000806C: 7E0C033C
	s_mov_b64 s[60:61], 0                                      // 000000008070: BEBC0180
	v_readlane_b32 s82, v3, 12                                 // 000000008074: D2890052 00011903
	s_and_b32 s82, s82, 0xffffff                               // 00000000807C: 8652FF52 00FFFFFF
	s_cmp_lt_u32 s82, s66                                      // 000000008084: BF0A4252
	s_cselect_b32 s20, s36, s60                                // 000000008088: 85143C24
	v_readlane_b32 s82, v3, 13                                 // 00000000808C: D2890052 00011B03
	s_and_b32 s82, s82, 0xffffff                               // 000000008094: 8652FF52 00FFFFFF
	s_cmp_lt_u32 s82, s66                                      // 00000000809C: BF0A4252
	s_cselect_b32 s21, s36, s60                                // 0000000080A0: 85153C24
	s_mov_b64 exec, s[20:21]                                   // 0000000080A4: BEFE0114
	global_atomic_add_f32 v6, v94, s[8:9] offset:8             // 0000000080A8: DD348008 00085E06
	global_atomic_add_f32 v6, v98, s[8:9] offset:264           // 0000000080B0: DD348108 00086206
	s_mov_b64 exec, s[36:37]                                   // 0000000080B8: BEFE0124
	v_mov_b32_e32 v6, v61                                      // 0000000080BC: 7E0C033D
	s_mov_b64 s[60:61], 0                                      // 0000000080C0: BEBC0180
	v_readlane_b32 s82, v3, 14                                 // 0000000080C4: D2890052 00011D03
	s_and_b32 s82, s82, 0xffffff                               // 0000000080CC: 8652FF52 00FFFFFF
	s_cmp_lt_u32 s82, s66                                      // 0000000080D4: BF0A4252
	s_cselect_b32 s20, s36, s60                                // 0000000080D8: 85143C24
	v_readlane_b32 s82, v3, 15                                 // 0000000080DC: D2890052 00011F03
	s_and_b32 s82, s82, 0xffffff                               // 0000000080E4: 8652FF52 00FFFFFF
	s_cmp_lt_u32 s82, s66                                      // 0000000080EC: BF0A4252
	s_cselect_b32 s21, s36, s60                                // 0000000080F0: 85153C24
	s_mov_b64 exec, s[20:21]                                   // 0000000080F4: BEFE0114
	global_atomic_add_f32 v6, v95, s[8:9] offset:8             // 0000000080F8: DD348008 00085F06
	global_atomic_add_f32 v6, v99, s[8:9] offset:264           // 000000008100: DD348108 00086306
	s_mov_b64 exec, s[36:37]                                   // 000000008108: BEFE0124
	v_mov_b32_e32 v6, v62                                      // 00000000810C: 7E0C033E
	s_mov_b64 s[60:61], 0                                      // 000000008110: BEBC0180
	v_readlane_b32 s82, v3, 16                                 // 000000008114: D2890052 00012103
	s_and_b32 s82, s82, 0xffffff                               // 00000000811C: 8652FF52 00FFFFFF
	s_cmp_lt_u32 s82, s66                                      // 000000008124: BF0A4252
	s_cselect_b32 s20, s36, s60                                // 000000008128: 85143C24
	v_readlane_b32 s82, v3, 17                                 // 00000000812C: D2890052 00012303
	s_and_b32 s82, s82, 0xffffff                               // 000000008134: 8652FF52 00FFFFFF
	s_cmp_lt_u32 s82, s66                                      // 00000000813C: BF0A4252
	s_cselect_b32 s21, s36, s60                                // 000000008140: 85153C24
	s_mov_b64 exec, s[20:21]                                   // 000000008144: BEFE0114
	global_atomic_add_f32 v6, v102, s[8:9] offset:8            // 000000008148: DD348008 00086606
	global_atomic_add_f32 v6, v106, s[8:9] offset:264          // 000000008150: DD348108 00086A06
	s_mov_b64 exec, s[36:37]                                   // 000000008158: BEFE0124
	v_mov_b32_e32 v6, v63                                      // 00000000815C: 7E0C033F
	s_mov_b64 s[60:61], 0                                      // 000000008160: BEBC0180
	v_readlane_b32 s82, v3, 18                                 // 000000008164: D2890052 00012503
	s_and_b32 s82, s82, 0xffffff                               // 00000000816C: 8652FF52 00FFFFFF
	s_cmp_lt_u32 s82, s66                                      // 000000008174: BF0A4252
	s_cselect_b32 s20, s36, s60                                // 000000008178: 85143C24
	v_readlane_b32 s82, v3, 19                                 // 00000000817C: D2890052 00012703
	s_and_b32 s82, s82, 0xffffff                               // 000000008184: 8652FF52 00FFFFFF
	s_cmp_lt_u32 s82, s66                                      // 00000000818C: BF0A4252
	s_cselect_b32 s21, s36, s60                                // 000000008190: 85153C24
	s_mov_b64 exec, s[20:21]                                   // 000000008194: BEFE0114
	global_atomic_add_f32 v6, v103, s[8:9] offset:8            // 000000008198: DD348008 00086706
	global_atomic_add_f32 v6, v107, s[8:9] offset:264          // 0000000081A0: DD348108 00086B06
	s_mov_b64 exec, s[36:37]                                   // 0000000081A8: BEFE0124
	v_mov_b32_e32 v6, v64                                      // 0000000081AC: 7E0C0340
	s_mov_b64 s[60:61], 0                                      // 0000000081B0: BEBC0180
	v_readlane_b32 s82, v3, 20                                 // 0000000081B4: D2890052 00012903
	s_and_b32 s82, s82, 0xffffff                               // 0000000081BC: 8652FF52 00FFFFFF
	s_cmp_lt_u32 s82, s66                                      // 0000000081C4: BF0A4252
	s_cselect_b32 s20, s36, s60                                // 0000000081C8: 85143C24
	v_readlane_b32 s82, v3, 21                                 // 0000000081CC: D2890052 00012B03
	s_and_b32 s82, s82, 0xffffff                               // 0000000081D4: 8652FF52 00FFFFFF
	s_cmp_lt_u32 s82, s66                                      // 0000000081DC: BF0A4252
	s_cselect_b32 s21, s36, s60                                // 0000000081E0: 85153C24
	s_mov_b64 exec, s[20:21]                                   // 0000000081E4: BEFE0114
	global_atomic_add_f32 v6, v110, s[8:9] offset:8            // 0000000081E8: DD348008 00086E06
	global_atomic_add_f32 v6, v114, s[8:9] offset:264          // 0000000081F0: DD348108 00087206
	s_mov_b64 exec, s[36:37]                                   // 0000000081F8: BEFE0124
	v_mov_b32_e32 v6, v65                                      // 0000000081FC: 7E0C0341
	s_mov_b64 s[60:61], 0                                      // 000000008200: BEBC0180
	v_readlane_b32 s82, v3, 22                                 // 000000008204: D2890052 00012D03
	s_and_b32 s82, s82, 0xffffff                               // 00000000820C: 8652FF52 00FFFFFF
	s_cmp_lt_u32 s82, s66                                      // 000000008214: BF0A4252
	s_cselect_b32 s20, s36, s60                                // 000000008218: 85143C24
	v_readlane_b32 s82, v3, 23                                 // 00000000821C: D2890052 00012F03
	s_and_b32 s82, s82, 0xffffff                               // 000000008224: 8652FF52 00FFFFFF
	s_cmp_lt_u32 s82, s66                                      // 00000000822C: BF0A4252
	s_cselect_b32 s21, s36, s60                                // 000000008230: 85153C24
	s_mov_b64 exec, s[20:21]                                   // 000000008234: BEFE0114
	global_atomic_add_f32 v6, v111, s[8:9] offset:8            // 000000008238: DD348008 00086F06
	global_atomic_add_f32 v6, v115, s[8:9] offset:264          // 000000008240: DD348108 00087306
	s_mov_b64 exec, s[36:37]                                   // 000000008248: BEFE0124
	ds_write_b64 v20, v[116:117]                               // 00000000824C: D89A0000 00007414
	ds_write_b64 v20, v[120:121] offset:4352                   // 000000008254: D89A1100 00007814
	ds_write_b64 v20, v[124:125] offset:8704                   // 00000000825C: D89A2200 00007C14
	ds_write_b64 v20, v[128:129] offset:13056                  // 000000008264: D89A3300 00008014
	ds_write_b64 v20, v[132:133] offset:17408                  // 00000000826C: D89A4400 00008414
	ds_write_b64 v20, v[136:137] offset:21760                  // 000000008274: D89A5500 00008814
	ds_write_b64 v20, v[140:141] offset:2176                   // 00000000827C: D89A0880 00008C14
	ds_write_b64 v20, v[144:145] offset:6528                   // 000000008284: D89A1980 00009014
	ds_write_b64 v20, v[148:149] offset:10880                  // 00000000828C: D89A2A80 00009414
	ds_write_b64 v20, v[152:153] offset:15232                  // 000000008294: D89A3B80 00009814
	ds_write_b64 v20, v[156:157] offset:19584                  // 00000000829C: D89A4C80 00009C14
	ds_write_b64 v20, v[160:161] offset:23936                  // 0000000082A4: D89A5D80 0000A014
	s_waitcnt lgkmcnt(0)                                       // 0000000082AC: BF8CC07F
	s_barrier                                                  // 0000000082B0: BF8A0000
	ds_read_b32 v116, v21                                      // 0000000082B4: D86C0000 74000015
	ds_read_b32 v117, v21 offset:64                            // 0000000082BC: D86C0040 75000015
	ds_read_b32 v120, v21 offset:2176                          // 0000000082C4: D86C0880 78000015
	ds_read_b32 v121, v21 offset:2240                          // 0000000082CC: D86C08C0 79000015
	ds_read_b32 v124, v21 offset:4352                          // 0000000082D4: D86C1100 7C000015
	ds_read_b32 v125, v21 offset:4416                          // 0000000082DC: D86C1140 7D000015
	ds_read_b32 v128, v21 offset:6528                          // 0000000082E4: D86C1980 80000015
	ds_read_b32 v129, v21 offset:6592                          // 0000000082EC: D86C19C0 81000015
	ds_read_b32 v132, v21 offset:8704                          // 0000000082F4: D86C2200 84000015
	ds_read_b32 v133, v21 offset:8768                          // 0000000082FC: D86C2240 85000015
	ds_read_b32 v136, v21 offset:10880                         // 000000008304: D86C2A80 88000015
	ds_read_b32 v137, v21 offset:10944                         // 00000000830C: D86C2AC0 89000015
	ds_read_b32 v140, v21 offset:13056                         // 000000008314: D86C3300 8C000015
	ds_read_b32 v141, v21 offset:13120                         // 00000000831C: D86C3340 8D000015
	ds_read_b32 v144, v21 offset:15232                         // 000000008324: D86C3B80 90000015
	ds_read_b32 v145, v21 offset:15296                         // 00000000832C: D86C3BC0 91000015
	ds_read_b32 v148, v21 offset:17408                         // 000000008334: D86C4400 94000015
	ds_read_b32 v149, v21 offset:17472                         // 00000000833C: D86C4440 95000015
	ds_read_b32 v152, v21 offset:19584                         // 000000008344: D86C4C80 98000015
	ds_read_b32 v153, v21 offset:19648                         // 00000000834C: D86C4CC0 99000015
	ds_read_b32 v156, v21 offset:21760                         // 000000008354: D86C5500 9C000015
	ds_read_b32 v157, v21 offset:21824                         // 00000000835C: D86C5540 9D000015
	ds_read_b32 v160, v21 offset:23936                         // 000000008364: D86C5D80 A0000015
	ds_read_b32 v161, v21 offset:24000                         // 00000000836C: D86C5DC0 A1000015
	s_mul_i32 s60, s65, 4                                      // 000000008374: 923C8441
	s_add_u32 s8, s60, s8                                      // 000000008378: 8008083C
	s_addc_u32 s9, 0, s9                                       // 00000000837C: 82090980
	s_waitcnt lgkmcnt(0)                                       // 000000008380: BF8CC07F
	v_mov_b32_e32 v7, 0                                        // 000000008384: 7E0E0280
	s_mov_b64 exec, s[36:37]                                   // 000000008388: BEFE0124
	v_mov_b32_e32 v6, v54                                      // 00000000838C: 7E0C0336
	s_mov_b64 s[60:61], 0                                      // 000000008390: BEBC0180
	v_readlane_b32 s82, v3, 0                                  // 000000008394: D2890052 00010103
	s_and_b32 s82, s82, 0xffffff                               // 00000000839C: 8652FF52 00FFFFFF
	s_cmp_lt_u32 s82, s66                                      // 0000000083A4: BF0A4252
	s_cselect_b32 s20, s36, s60                                // 0000000083A8: 85143C24
	v_readlane_b32 s82, v3, 1                                  // 0000000083AC: D2890052 00010303
	s_and_b32 s82, s82, 0xffffff                               // 0000000083B4: 8652FF52 00FFFFFF
	s_cmp_lt_u32 s82, s66                                      // 0000000083BC: BF0A4252
	s_cselect_b32 s21, s36, s60                                // 0000000083C0: 85153C24
	s_mov_b64 exec, s[20:21]                                   // 0000000083C4: BEFE0114
	global_atomic_add_f32 v6, v116, s[8:9]                     // 0000000083C8: DD348000 00087406
	global_atomic_add_f32 v6, v120, s[8:9] offset:256          // 0000000083D0: DD348100 00087806
	s_mov_b64 exec, s[36:37]                                   // 0000000083D8: BEFE0124
	v_mov_b32_e32 v6, v55                                      // 0000000083DC: 7E0C0337
	s_mov_b64 s[60:61], 0                                      // 0000000083E0: BEBC0180
	v_readlane_b32 s82, v3, 2                                  // 0000000083E4: D2890052 00010503
	s_and_b32 s82, s82, 0xffffff                               // 0000000083EC: 8652FF52 00FFFFFF
	s_cmp_lt_u32 s82, s66                                      // 0000000083F4: BF0A4252
	s_cselect_b32 s20, s36, s60                                // 0000000083F8: 85143C24
	v_readlane_b32 s82, v3, 3                                  // 0000000083FC: D2890052 00010703
	s_and_b32 s82, s82, 0xffffff                               // 000000008404: 8652FF52 00FFFFFF
	s_cmp_lt_u32 s82, s66                                      // 00000000840C: BF0A4252
	s_cselect_b32 s21, s36, s60                                // 000000008410: 85153C24
	s_mov_b64 exec, s[20:21]                                   // 000000008414: BEFE0114
	global_atomic_add_f32 v6, v117, s[8:9]                     // 000000008418: DD348000 00087506
	global_atomic_add_f32 v6, v121, s[8:9] offset:256          // 000000008420: DD348100 00087906
	s_mov_b64 exec, s[36:37]                                   // 000000008428: BEFE0124
	v_mov_b32_e32 v6, v56                                      // 00000000842C: 7E0C0338
	s_mov_b64 s[60:61], 0                                      // 000000008430: BEBC0180
	v_readlane_b32 s82, v3, 4                                  // 000000008434: D2890052 00010903
	s_and_b32 s82, s82, 0xffffff                               // 00000000843C: 8652FF52 00FFFFFF
	s_cmp_lt_u32 s82, s66                                      // 000000008444: BF0A4252
	s_cselect_b32 s20, s36, s60                                // 000000008448: 85143C24
	v_readlane_b32 s82, v3, 5                                  // 00000000844C: D2890052 00010B03
	s_and_b32 s82, s82, 0xffffff                               // 000000008454: 8652FF52 00FFFFFF
	s_cmp_lt_u32 s82, s66                                      // 00000000845C: BF0A4252
	s_cselect_b32 s21, s36, s60                                // 000000008460: 85153C24
	s_mov_b64 exec, s[20:21]                                   // 000000008464: BEFE0114
	global_atomic_add_f32 v6, v124, s[8:9]                     // 000000008468: DD348000 00087C06
	global_atomic_add_f32 v6, v128, s[8:9] offset:256          // 000000008470: DD348100 00088006
	s_mov_b64 exec, s[36:37]                                   // 000000008478: BEFE0124
	v_mov_b32_e32 v6, v57                                      // 00000000847C: 7E0C0339
	s_mov_b64 s[60:61], 0                                      // 000000008480: BEBC0180
	v_readlane_b32 s82, v3, 6                                  // 000000008484: D2890052 00010D03
	s_and_b32 s82, s82, 0xffffff                               // 00000000848C: 8652FF52 00FFFFFF
	s_cmp_lt_u32 s82, s66                                      // 000000008494: BF0A4252
	s_cselect_b32 s20, s36, s60                                // 000000008498: 85143C24
	v_readlane_b32 s82, v3, 7                                  // 00000000849C: D2890052 00010F03
	s_and_b32 s82, s82, 0xffffff                               // 0000000084A4: 8652FF52 00FFFFFF
	s_cmp_lt_u32 s82, s66                                      // 0000000084AC: BF0A4252
	s_cselect_b32 s21, s36, s60                                // 0000000084B0: 85153C24
	s_mov_b64 exec, s[20:21]                                   // 0000000084B4: BEFE0114
	global_atomic_add_f32 v6, v125, s[8:9]                     // 0000000084B8: DD348000 00087D06
	global_atomic_add_f32 v6, v129, s[8:9] offset:256          // 0000000084C0: DD348100 00088106
	s_mov_b64 exec, s[36:37]                                   // 0000000084C8: BEFE0124
	v_mov_b32_e32 v6, v58                                      // 0000000084CC: 7E0C033A
	s_mov_b64 s[60:61], 0                                      // 0000000084D0: BEBC0180
	v_readlane_b32 s82, v3, 8                                  // 0000000084D4: D2890052 00011103
	s_and_b32 s82, s82, 0xffffff                               // 0000000084DC: 8652FF52 00FFFFFF
	s_cmp_lt_u32 s82, s66                                      // 0000000084E4: BF0A4252
	s_cselect_b32 s20, s36, s60                                // 0000000084E8: 85143C24
	v_readlane_b32 s82, v3, 9                                  // 0000000084EC: D2890052 00011303
	s_and_b32 s82, s82, 0xffffff                               // 0000000084F4: 8652FF52 00FFFFFF
	s_cmp_lt_u32 s82, s66                                      // 0000000084FC: BF0A4252
	s_cselect_b32 s21, s36, s60                                // 000000008500: 85153C24
	s_mov_b64 exec, s[20:21]                                   // 000000008504: BEFE0114
	global_atomic_add_f32 v6, v132, s[8:9]                     // 000000008508: DD348000 00088406
	global_atomic_add_f32 v6, v136, s[8:9] offset:256          // 000000008510: DD348100 00088806
	s_mov_b64 exec, s[36:37]                                   // 000000008518: BEFE0124
	v_mov_b32_e32 v6, v59                                      // 00000000851C: 7E0C033B
	s_mov_b64 s[60:61], 0                                      // 000000008520: BEBC0180
	v_readlane_b32 s82, v3, 10                                 // 000000008524: D2890052 00011503
	s_and_b32 s82, s82, 0xffffff                               // 00000000852C: 8652FF52 00FFFFFF
	s_cmp_lt_u32 s82, s66                                      // 000000008534: BF0A4252
	s_cselect_b32 s20, s36, s60                                // 000000008538: 85143C24
	v_readlane_b32 s82, v3, 11                                 // 00000000853C: D2890052 00011703
	s_and_b32 s82, s82, 0xffffff                               // 000000008544: 8652FF52 00FFFFFF
	s_cmp_lt_u32 s82, s66                                      // 00000000854C: BF0A4252
	s_cselect_b32 s21, s36, s60                                // 000000008550: 85153C24
	s_mov_b64 exec, s[20:21]                                   // 000000008554: BEFE0114
	global_atomic_add_f32 v6, v133, s[8:9]                     // 000000008558: DD348000 00088506
	global_atomic_add_f32 v6, v137, s[8:9] offset:256          // 000000008560: DD348100 00088906
	s_mov_b64 exec, s[36:37]                                   // 000000008568: BEFE0124
	v_mov_b32_e32 v6, v60                                      // 00000000856C: 7E0C033C
	s_mov_b64 s[60:61], 0                                      // 000000008570: BEBC0180
	v_readlane_b32 s82, v3, 12                                 // 000000008574: D2890052 00011903
	s_and_b32 s82, s82, 0xffffff                               // 00000000857C: 8652FF52 00FFFFFF
	s_cmp_lt_u32 s82, s66                                      // 000000008584: BF0A4252
	s_cselect_b32 s20, s36, s60                                // 000000008588: 85143C24
	v_readlane_b32 s82, v3, 13                                 // 00000000858C: D2890052 00011B03
	s_and_b32 s82, s82, 0xffffff                               // 000000008594: 8652FF52 00FFFFFF
	s_cmp_lt_u32 s82, s66                                      // 00000000859C: BF0A4252
	s_cselect_b32 s21, s36, s60                                // 0000000085A0: 85153C24
	s_mov_b64 exec, s[20:21]                                   // 0000000085A4: BEFE0114
	global_atomic_add_f32 v6, v140, s[8:9]                     // 0000000085A8: DD348000 00088C06
	global_atomic_add_f32 v6, v144, s[8:9] offset:256          // 0000000085B0: DD348100 00089006
	s_mov_b64 exec, s[36:37]                                   // 0000000085B8: BEFE0124
	v_mov_b32_e32 v6, v61                                      // 0000000085BC: 7E0C033D
	s_mov_b64 s[60:61], 0                                      // 0000000085C0: BEBC0180
	v_readlane_b32 s82, v3, 14                                 // 0000000085C4: D2890052 00011D03
	s_and_b32 s82, s82, 0xffffff                               // 0000000085CC: 8652FF52 00FFFFFF
	s_cmp_lt_u32 s82, s66                                      // 0000000085D4: BF0A4252
	s_cselect_b32 s20, s36, s60                                // 0000000085D8: 85143C24
	v_readlane_b32 s82, v3, 15                                 // 0000000085DC: D2890052 00011F03
	s_and_b32 s82, s82, 0xffffff                               // 0000000085E4: 8652FF52 00FFFFFF
	s_cmp_lt_u32 s82, s66                                      // 0000000085EC: BF0A4252
	s_cselect_b32 s21, s36, s60                                // 0000000085F0: 85153C24
	s_mov_b64 exec, s[20:21]                                   // 0000000085F4: BEFE0114
	global_atomic_add_f32 v6, v141, s[8:9]                     // 0000000085F8: DD348000 00088D06
	global_atomic_add_f32 v6, v145, s[8:9] offset:256          // 000000008600: DD348100 00089106
	s_mov_b64 exec, s[36:37]                                   // 000000008608: BEFE0124
	v_mov_b32_e32 v6, v62                                      // 00000000860C: 7E0C033E
	s_mov_b64 s[60:61], 0                                      // 000000008610: BEBC0180
	v_readlane_b32 s82, v3, 16                                 // 000000008614: D2890052 00012103
	s_and_b32 s82, s82, 0xffffff                               // 00000000861C: 8652FF52 00FFFFFF
	s_cmp_lt_u32 s82, s66                                      // 000000008624: BF0A4252
	s_cselect_b32 s20, s36, s60                                // 000000008628: 85143C24
	v_readlane_b32 s82, v3, 17                                 // 00000000862C: D2890052 00012303
	s_and_b32 s82, s82, 0xffffff                               // 000000008634: 8652FF52 00FFFFFF
	s_cmp_lt_u32 s82, s66                                      // 00000000863C: BF0A4252
	s_cselect_b32 s21, s36, s60                                // 000000008640: 85153C24
	s_mov_b64 exec, s[20:21]                                   // 000000008644: BEFE0114
	global_atomic_add_f32 v6, v148, s[8:9]                     // 000000008648: DD348000 00089406
	global_atomic_add_f32 v6, v152, s[8:9] offset:256          // 000000008650: DD348100 00089806
	s_mov_b64 exec, s[36:37]                                   // 000000008658: BEFE0124
	v_mov_b32_e32 v6, v63                                      // 00000000865C: 7E0C033F
	s_mov_b64 s[60:61], 0                                      // 000000008660: BEBC0180
	v_readlane_b32 s82, v3, 18                                 // 000000008664: D2890052 00012503
	s_and_b32 s82, s82, 0xffffff                               // 00000000866C: 8652FF52 00FFFFFF
	s_cmp_lt_u32 s82, s66                                      // 000000008674: BF0A4252
	s_cselect_b32 s20, s36, s60                                // 000000008678: 85143C24
	v_readlane_b32 s82, v3, 19                                 // 00000000867C: D2890052 00012703
	s_and_b32 s82, s82, 0xffffff                               // 000000008684: 8652FF52 00FFFFFF
	s_cmp_lt_u32 s82, s66                                      // 00000000868C: BF0A4252
	s_cselect_b32 s21, s36, s60                                // 000000008690: 85153C24
	s_mov_b64 exec, s[20:21]                                   // 000000008694: BEFE0114
	global_atomic_add_f32 v6, v149, s[8:9]                     // 000000008698: DD348000 00089506
	global_atomic_add_f32 v6, v153, s[8:9] offset:256          // 0000000086A0: DD348100 00089906
	s_mov_b64 exec, s[36:37]                                   // 0000000086A8: BEFE0124
	v_mov_b32_e32 v6, v64                                      // 0000000086AC: 7E0C0340
	s_mov_b64 s[60:61], 0                                      // 0000000086B0: BEBC0180
	v_readlane_b32 s82, v3, 20                                 // 0000000086B4: D2890052 00012903
	s_and_b32 s82, s82, 0xffffff                               // 0000000086BC: 8652FF52 00FFFFFF
	s_cmp_lt_u32 s82, s66                                      // 0000000086C4: BF0A4252
	s_cselect_b32 s20, s36, s60                                // 0000000086C8: 85143C24
	v_readlane_b32 s82, v3, 21                                 // 0000000086CC: D2890052 00012B03
	s_and_b32 s82, s82, 0xffffff                               // 0000000086D4: 8652FF52 00FFFFFF
	s_cmp_lt_u32 s82, s66                                      // 0000000086DC: BF0A4252
	s_cselect_b32 s21, s36, s60                                // 0000000086E0: 85153C24
	s_mov_b64 exec, s[20:21]                                   // 0000000086E4: BEFE0114
	global_atomic_add_f32 v6, v156, s[8:9]                     // 0000000086E8: DD348000 00089C06
	global_atomic_add_f32 v6, v160, s[8:9] offset:256          // 0000000086F0: DD348100 0008A006
	s_mov_b64 exec, s[36:37]                                   // 0000000086F8: BEFE0124
	v_mov_b32_e32 v6, v65                                      // 0000000086FC: 7E0C0341
	s_mov_b64 s[60:61], 0                                      // 000000008700: BEBC0180
	v_readlane_b32 s82, v3, 22                                 // 000000008704: D2890052 00012D03
	s_and_b32 s82, s82, 0xffffff                               // 00000000870C: 8652FF52 00FFFFFF
	s_cmp_lt_u32 s82, s66                                      // 000000008714: BF0A4252
	s_cselect_b32 s20, s36, s60                                // 000000008718: 85143C24
	v_readlane_b32 s82, v3, 23                                 // 00000000871C: D2890052 00012F03
	s_and_b32 s82, s82, 0xffffff                               // 000000008724: 8652FF52 00FFFFFF
	s_cmp_lt_u32 s82, s66                                      // 00000000872C: BF0A4252
	s_cselect_b32 s21, s36, s60                                // 000000008730: 85153C24
	s_mov_b64 exec, s[20:21]                                   // 000000008734: BEFE0114
	global_atomic_add_f32 v6, v157, s[8:9]                     // 000000008738: DD348000 00089D06
	global_atomic_add_f32 v6, v161, s[8:9] offset:256          // 000000008740: DD348100 0008A106
	s_mov_b64 exec, s[36:37]                                   // 000000008748: BEFE0124
	ds_write_b64 v20, v[118:119]                               // 00000000874C: D89A0000 00007614
	ds_write_b64 v20, v[122:123] offset:4352                   // 000000008754: D89A1100 00007A14
	ds_write_b64 v20, v[126:127] offset:8704                   // 00000000875C: D89A2200 00007E14
	ds_write_b64 v20, v[130:131] offset:13056                  // 000000008764: D89A3300 00008214
	ds_write_b64 v20, v[134:135] offset:17408                  // 00000000876C: D89A4400 00008614
	ds_write_b64 v20, v[138:139] offset:21760                  // 000000008774: D89A5500 00008A14
	ds_write_b64 v20, v[142:143] offset:2176                   // 00000000877C: D89A0880 00008E14
	ds_write_b64 v20, v[146:147] offset:6528                   // 000000008784: D89A1980 00009214
	ds_write_b64 v20, v[150:151] offset:10880                  // 00000000878C: D89A2A80 00009614
	ds_write_b64 v20, v[154:155] offset:15232                  // 000000008794: D89A3B80 00009A14
	ds_write_b64 v20, v[158:159] offset:19584                  // 00000000879C: D89A4C80 00009E14
	ds_write_b64 v20, v[162:163] offset:23936                  // 0000000087A4: D89A5D80 0000A214
	s_waitcnt lgkmcnt(0)                                       // 0000000087AC: BF8CC07F
	s_barrier                                                  // 0000000087B0: BF8A0000
	ds_read_b32 v118, v21                                      // 0000000087B4: D86C0000 76000015
	ds_read_b32 v119, v21 offset:64                            // 0000000087BC: D86C0040 77000015
	ds_read_b32 v122, v21 offset:2176                          // 0000000087C4: D86C0880 7A000015
	ds_read_b32 v123, v21 offset:2240                          // 0000000087CC: D86C08C0 7B000015
	ds_read_b32 v126, v21 offset:4352                          // 0000000087D4: D86C1100 7E000015
	ds_read_b32 v127, v21 offset:4416                          // 0000000087DC: D86C1140 7F000015
	ds_read_b32 v130, v21 offset:6528                          // 0000000087E4: D86C1980 82000015
	ds_read_b32 v131, v21 offset:6592                          // 0000000087EC: D86C19C0 83000015
	ds_read_b32 v134, v21 offset:8704                          // 0000000087F4: D86C2200 86000015
	ds_read_b32 v135, v21 offset:8768                          // 0000000087FC: D86C2240 87000015
	ds_read_b32 v138, v21 offset:10880                         // 000000008804: D86C2A80 8A000015
	ds_read_b32 v139, v21 offset:10944                         // 00000000880C: D86C2AC0 8B000015
	ds_read_b32 v142, v21 offset:13056                         // 000000008814: D86C3300 8E000015
	ds_read_b32 v143, v21 offset:13120                         // 00000000881C: D86C3340 8F000015
	ds_read_b32 v146, v21 offset:15232                         // 000000008824: D86C3B80 92000015
	ds_read_b32 v147, v21 offset:15296                         // 00000000882C: D86C3BC0 93000015
	ds_read_b32 v150, v21 offset:17408                         // 000000008834: D86C4400 96000015
	ds_read_b32 v151, v21 offset:17472                         // 00000000883C: D86C4440 97000015
	ds_read_b32 v154, v21 offset:19584                         // 000000008844: D86C4C80 9A000015
	ds_read_b32 v155, v21 offset:19648                         // 00000000884C: D86C4CC0 9B000015
	ds_read_b32 v158, v21 offset:21760                         // 000000008854: D86C5500 9E000015
	ds_read_b32 v159, v21 offset:21824                         // 00000000885C: D86C5540 9F000015
	ds_read_b32 v162, v21 offset:23936                         // 000000008864: D86C5D80 A2000015
	ds_read_b32 v163, v21 offset:24000                         // 00000000886C: D86C5DC0 A3000015
	s_waitcnt lgkmcnt(0)                                       // 000000008874: BF8CC07F
	v_mov_b32_e32 v7, 0                                        // 000000008878: 7E0E0280
	s_mov_b64 exec, s[36:37]                                   // 00000000887C: BEFE0124
	v_mov_b32_e32 v6, v54                                      // 000000008880: 7E0C0336
	s_mov_b64 s[60:61], 0                                      // 000000008884: BEBC0180
	v_readlane_b32 s82, v3, 0                                  // 000000008888: D2890052 00010103
	s_and_b32 s82, s82, 0xffffff                               // 000000008890: 8652FF52 00FFFFFF
	s_cmp_lt_u32 s82, s66                                      // 000000008898: BF0A4252
	s_cselect_b32 s20, s36, s60                                // 00000000889C: 85143C24
	v_readlane_b32 s82, v3, 1                                  // 0000000088A0: D2890052 00010303
	s_and_b32 s82, s82, 0xffffff                               // 0000000088A8: 8652FF52 00FFFFFF
	s_cmp_lt_u32 s82, s66                                      // 0000000088B0: BF0A4252
	s_cselect_b32 s21, s36, s60                                // 0000000088B4: 85153C24
	s_mov_b64 exec, s[20:21]                                   // 0000000088B8: BEFE0114
	global_atomic_add_f32 v6, v118, s[8:9] offset:8            // 0000000088BC: DD348008 00087606
	global_atomic_add_f32 v6, v122, s[8:9] offset:264          // 0000000088C4: DD348108 00087A06
	s_mov_b64 exec, s[36:37]                                   // 0000000088CC: BEFE0124
	v_mov_b32_e32 v6, v55                                      // 0000000088D0: 7E0C0337
	s_mov_b64 s[60:61], 0                                      // 0000000088D4: BEBC0180
	v_readlane_b32 s82, v3, 2                                  // 0000000088D8: D2890052 00010503
	s_and_b32 s82, s82, 0xffffff                               // 0000000088E0: 8652FF52 00FFFFFF
	s_cmp_lt_u32 s82, s66                                      // 0000000088E8: BF0A4252
	s_cselect_b32 s20, s36, s60                                // 0000000088EC: 85143C24
	v_readlane_b32 s82, v3, 3                                  // 0000000088F0: D2890052 00010703
	s_and_b32 s82, s82, 0xffffff                               // 0000000088F8: 8652FF52 00FFFFFF
	s_cmp_lt_u32 s82, s66                                      // 000000008900: BF0A4252
	s_cselect_b32 s21, s36, s60                                // 000000008904: 85153C24
	s_mov_b64 exec, s[20:21]                                   // 000000008908: BEFE0114
	global_atomic_add_f32 v6, v119, s[8:9] offset:8            // 00000000890C: DD348008 00087706
	global_atomic_add_f32 v6, v123, s[8:9] offset:264          // 000000008914: DD348108 00087B06
	s_mov_b64 exec, s[36:37]                                   // 00000000891C: BEFE0124
	v_mov_b32_e32 v6, v56                                      // 000000008920: 7E0C0338
	s_mov_b64 s[60:61], 0                                      // 000000008924: BEBC0180
	v_readlane_b32 s82, v3, 4                                  // 000000008928: D2890052 00010903
	s_and_b32 s82, s82, 0xffffff                               // 000000008930: 8652FF52 00FFFFFF
	s_cmp_lt_u32 s82, s66                                      // 000000008938: BF0A4252
	s_cselect_b32 s20, s36, s60                                // 00000000893C: 85143C24
	v_readlane_b32 s82, v3, 5                                  // 000000008940: D2890052 00010B03
	s_and_b32 s82, s82, 0xffffff                               // 000000008948: 8652FF52 00FFFFFF
	s_cmp_lt_u32 s82, s66                                      // 000000008950: BF0A4252
	s_cselect_b32 s21, s36, s60                                // 000000008954: 85153C24
	s_mov_b64 exec, s[20:21]                                   // 000000008958: BEFE0114
	global_atomic_add_f32 v6, v126, s[8:9] offset:8            // 00000000895C: DD348008 00087E06
	global_atomic_add_f32 v6, v130, s[8:9] offset:264          // 000000008964: DD348108 00088206
	s_mov_b64 exec, s[36:37]                                   // 00000000896C: BEFE0124
	v_mov_b32_e32 v6, v57                                      // 000000008970: 7E0C0339
	s_mov_b64 s[60:61], 0                                      // 000000008974: BEBC0180
	v_readlane_b32 s82, v3, 6                                  // 000000008978: D2890052 00010D03
	s_and_b32 s82, s82, 0xffffff                               // 000000008980: 8652FF52 00FFFFFF
	s_cmp_lt_u32 s82, s66                                      // 000000008988: BF0A4252
	s_cselect_b32 s20, s36, s60                                // 00000000898C: 85143C24
	v_readlane_b32 s82, v3, 7                                  // 000000008990: D2890052 00010F03
	s_and_b32 s82, s82, 0xffffff                               // 000000008998: 8652FF52 00FFFFFF
	s_cmp_lt_u32 s82, s66                                      // 0000000089A0: BF0A4252
	s_cselect_b32 s21, s36, s60                                // 0000000089A4: 85153C24
	s_mov_b64 exec, s[20:21]                                   // 0000000089A8: BEFE0114
	global_atomic_add_f32 v6, v127, s[8:9] offset:8            // 0000000089AC: DD348008 00087F06
	global_atomic_add_f32 v6, v131, s[8:9] offset:264          // 0000000089B4: DD348108 00088306
	s_mov_b64 exec, s[36:37]                                   // 0000000089BC: BEFE0124
	v_mov_b32_e32 v6, v58                                      // 0000000089C0: 7E0C033A
	s_mov_b64 s[60:61], 0                                      // 0000000089C4: BEBC0180
	v_readlane_b32 s82, v3, 8                                  // 0000000089C8: D2890052 00011103
	s_and_b32 s82, s82, 0xffffff                               // 0000000089D0: 8652FF52 00FFFFFF
	s_cmp_lt_u32 s82, s66                                      // 0000000089D8: BF0A4252
	s_cselect_b32 s20, s36, s60                                // 0000000089DC: 85143C24
	v_readlane_b32 s82, v3, 9                                  // 0000000089E0: D2890052 00011303
	s_and_b32 s82, s82, 0xffffff                               // 0000000089E8: 8652FF52 00FFFFFF
	s_cmp_lt_u32 s82, s66                                      // 0000000089F0: BF0A4252
	s_cselect_b32 s21, s36, s60                                // 0000000089F4: 85153C24
	s_mov_b64 exec, s[20:21]                                   // 0000000089F8: BEFE0114
	global_atomic_add_f32 v6, v134, s[8:9] offset:8            // 0000000089FC: DD348008 00088606
	global_atomic_add_f32 v6, v138, s[8:9] offset:264          // 000000008A04: DD348108 00088A06
	s_mov_b64 exec, s[36:37]                                   // 000000008A0C: BEFE0124
	v_mov_b32_e32 v6, v59                                      // 000000008A10: 7E0C033B
	s_mov_b64 s[60:61], 0                                      // 000000008A14: BEBC0180
	v_readlane_b32 s82, v3, 10                                 // 000000008A18: D2890052 00011503
	s_and_b32 s82, s82, 0xffffff                               // 000000008A20: 8652FF52 00FFFFFF
	s_cmp_lt_u32 s82, s66                                      // 000000008A28: BF0A4252
	s_cselect_b32 s20, s36, s60                                // 000000008A2C: 85143C24
	v_readlane_b32 s82, v3, 11                                 // 000000008A30: D2890052 00011703
	s_and_b32 s82, s82, 0xffffff                               // 000000008A38: 8652FF52 00FFFFFF
	s_cmp_lt_u32 s82, s66                                      // 000000008A40: BF0A4252
	s_cselect_b32 s21, s36, s60                                // 000000008A44: 85153C24
	s_mov_b64 exec, s[20:21]                                   // 000000008A48: BEFE0114
	global_atomic_add_f32 v6, v135, s[8:9] offset:8            // 000000008A4C: DD348008 00088706
	global_atomic_add_f32 v6, v139, s[8:9] offset:264          // 000000008A54: DD348108 00088B06
	s_mov_b64 exec, s[36:37]                                   // 000000008A5C: BEFE0124
	v_mov_b32_e32 v6, v60                                      // 000000008A60: 7E0C033C
	s_mov_b64 s[60:61], 0                                      // 000000008A64: BEBC0180
	v_readlane_b32 s82, v3, 12                                 // 000000008A68: D2890052 00011903
	s_and_b32 s82, s82, 0xffffff                               // 000000008A70: 8652FF52 00FFFFFF
	s_cmp_lt_u32 s82, s66                                      // 000000008A78: BF0A4252
	s_cselect_b32 s20, s36, s60                                // 000000008A7C: 85143C24
	v_readlane_b32 s82, v3, 13                                 // 000000008A80: D2890052 00011B03
	s_and_b32 s82, s82, 0xffffff                               // 000000008A88: 8652FF52 00FFFFFF
	s_cmp_lt_u32 s82, s66                                      // 000000008A90: BF0A4252
	s_cselect_b32 s21, s36, s60                                // 000000008A94: 85153C24
	s_mov_b64 exec, s[20:21]                                   // 000000008A98: BEFE0114
	global_atomic_add_f32 v6, v142, s[8:9] offset:8            // 000000008A9C: DD348008 00088E06
	global_atomic_add_f32 v6, v146, s[8:9] offset:264          // 000000008AA4: DD348108 00089206
	s_mov_b64 exec, s[36:37]                                   // 000000008AAC: BEFE0124
	v_mov_b32_e32 v6, v61                                      // 000000008AB0: 7E0C033D
	s_mov_b64 s[60:61], 0                                      // 000000008AB4: BEBC0180
	v_readlane_b32 s82, v3, 14                                 // 000000008AB8: D2890052 00011D03
	s_and_b32 s82, s82, 0xffffff                               // 000000008AC0: 8652FF52 00FFFFFF
	s_cmp_lt_u32 s82, s66                                      // 000000008AC8: BF0A4252
	s_cselect_b32 s20, s36, s60                                // 000000008ACC: 85143C24
	v_readlane_b32 s82, v3, 15                                 // 000000008AD0: D2890052 00011F03
	s_and_b32 s82, s82, 0xffffff                               // 000000008AD8: 8652FF52 00FFFFFF
	s_cmp_lt_u32 s82, s66                                      // 000000008AE0: BF0A4252
	s_cselect_b32 s21, s36, s60                                // 000000008AE4: 85153C24
	s_mov_b64 exec, s[20:21]                                   // 000000008AE8: BEFE0114
	global_atomic_add_f32 v6, v143, s[8:9] offset:8            // 000000008AEC: DD348008 00088F06
	global_atomic_add_f32 v6, v147, s[8:9] offset:264          // 000000008AF4: DD348108 00089306
	s_mov_b64 exec, s[36:37]                                   // 000000008AFC: BEFE0124
	v_mov_b32_e32 v6, v62                                      // 000000008B00: 7E0C033E
	s_mov_b64 s[60:61], 0                                      // 000000008B04: BEBC0180
	v_readlane_b32 s82, v3, 16                                 // 000000008B08: D2890052 00012103
	s_and_b32 s82, s82, 0xffffff                               // 000000008B10: 8652FF52 00FFFFFF
	s_cmp_lt_u32 s82, s66                                      // 000000008B18: BF0A4252
	s_cselect_b32 s20, s36, s60                                // 000000008B1C: 85143C24
	v_readlane_b32 s82, v3, 17                                 // 000000008B20: D2890052 00012303
	s_and_b32 s82, s82, 0xffffff                               // 000000008B28: 8652FF52 00FFFFFF
	s_cmp_lt_u32 s82, s66                                      // 000000008B30: BF0A4252
	s_cselect_b32 s21, s36, s60                                // 000000008B34: 85153C24
	s_mov_b64 exec, s[20:21]                                   // 000000008B38: BEFE0114
	global_atomic_add_f32 v6, v150, s[8:9] offset:8            // 000000008B3C: DD348008 00089606
	global_atomic_add_f32 v6, v154, s[8:9] offset:264          // 000000008B44: DD348108 00089A06
	s_mov_b64 exec, s[36:37]                                   // 000000008B4C: BEFE0124
	v_mov_b32_e32 v6, v63                                      // 000000008B50: 7E0C033F
	s_mov_b64 s[60:61], 0                                      // 000000008B54: BEBC0180
	v_readlane_b32 s82, v3, 18                                 // 000000008B58: D2890052 00012503
	s_and_b32 s82, s82, 0xffffff                               // 000000008B60: 8652FF52 00FFFFFF
	s_cmp_lt_u32 s82, s66                                      // 000000008B68: BF0A4252
	s_cselect_b32 s20, s36, s60                                // 000000008B6C: 85143C24
	v_readlane_b32 s82, v3, 19                                 // 000000008B70: D2890052 00012703
	s_and_b32 s82, s82, 0xffffff                               // 000000008B78: 8652FF52 00FFFFFF
	s_cmp_lt_u32 s82, s66                                      // 000000008B80: BF0A4252
	s_cselect_b32 s21, s36, s60                                // 000000008B84: 85153C24
	s_mov_b64 exec, s[20:21]                                   // 000000008B88: BEFE0114
	global_atomic_add_f32 v6, v151, s[8:9] offset:8            // 000000008B8C: DD348008 00089706
	global_atomic_add_f32 v6, v155, s[8:9] offset:264          // 000000008B94: DD348108 00089B06
	s_mov_b64 exec, s[36:37]                                   // 000000008B9C: BEFE0124
	v_mov_b32_e32 v6, v64                                      // 000000008BA0: 7E0C0340
	s_mov_b64 s[60:61], 0                                      // 000000008BA4: BEBC0180
	v_readlane_b32 s82, v3, 20                                 // 000000008BA8: D2890052 00012903
	s_and_b32 s82, s82, 0xffffff                               // 000000008BB0: 8652FF52 00FFFFFF
	s_cmp_lt_u32 s82, s66                                      // 000000008BB8: BF0A4252
	s_cselect_b32 s20, s36, s60                                // 000000008BBC: 85143C24
	v_readlane_b32 s82, v3, 21                                 // 000000008BC0: D2890052 00012B03
	s_and_b32 s82, s82, 0xffffff                               // 000000008BC8: 8652FF52 00FFFFFF
	s_cmp_lt_u32 s82, s66                                      // 000000008BD0: BF0A4252
	s_cselect_b32 s21, s36, s60                                // 000000008BD4: 85153C24
	s_mov_b64 exec, s[20:21]                                   // 000000008BD8: BEFE0114
	global_atomic_add_f32 v6, v158, s[8:9] offset:8            // 000000008BDC: DD348008 00089E06
	global_atomic_add_f32 v6, v162, s[8:9] offset:264          // 000000008BE4: DD348108 0008A206
	s_mov_b64 exec, s[36:37]                                   // 000000008BEC: BEFE0124
	v_mov_b32_e32 v6, v65                                      // 000000008BF0: 7E0C0341
	s_mov_b64 s[60:61], 0                                      // 000000008BF4: BEBC0180
	v_readlane_b32 s82, v3, 22                                 // 000000008BF8: D2890052 00012D03
	s_and_b32 s82, s82, 0xffffff                               // 000000008C00: 8652FF52 00FFFFFF
	s_cmp_lt_u32 s82, s66                                      // 000000008C08: BF0A4252
	s_cselect_b32 s20, s36, s60                                // 000000008C0C: 85143C24
	v_readlane_b32 s82, v3, 23                                 // 000000008C10: D2890052 00012F03
	s_and_b32 s82, s82, 0xffffff                               // 000000008C18: 8652FF52 00FFFFFF
	s_cmp_lt_u32 s82, s66                                      // 000000008C20: BF0A4252
	s_cselect_b32 s21, s36, s60                                // 000000008C24: 85153C24
	s_mov_b64 exec, s[20:21]                                   // 000000008C28: BEFE0114
	global_atomic_add_f32 v6, v159, s[8:9] offset:8            // 000000008C2C: DD348008 00089F06
	global_atomic_add_f32 v6, v163, s[8:9] offset:264          // 000000008C34: DD348108 0008A306
	s_mov_b64 exec, s[36:37]                                   // 000000008C3C: BEFE0124
	s_branch label_2E06                                        // 000000008C40: BF821572

0000000000008c44 <label_1894>:
	s_waitcnt vmcnt(16) lgkmcnt(0)                             // 000000008C44: BF8C4070
	v_mfma_f32_16x16x32_fp8_fp8 v[68:71], a[96:97], a[0:1], v[68:71]// 000000008C48: D3F30044 1D120160
	buffer_load_dwordx4 a[128:131], v66, s[24:27], 0 offen     // 000000008C50: E05C1000 80868042
	v_mfma_f32_16x16x32_fp8_fp8 v[68:71], a[98:99], a[2:3], v[68:71]// 000000008C58: D3F30044 1D120562
	v_mfma_f32_16x16x32_fp8_fp8 v[68:71], a[100:101], a[4:5], v[68:71]// 000000008C60: D3F30044 1D120964
	v_mfma_f32_16x16x32_fp8_fp8 v[68:71], a[102:103], a[6:7], v[68:71]// 000000008C68: D3F30044 1D120D66
	v_mfma_f32_16x16x32_fp8_fp8 v[92:95], a[104:105], a[0:1], v[92:95]// 000000008C70: D3F3005C 1D720168
	buffer_load_dwordx4 a[132:135], v66, s[24:27], 0 offen offset:1024// 000000008C78: E05C1400 80868442
	v_mfma_f32_16x16x32_fp8_fp8 v[92:95], a[106:107], a[2:3], v[92:95]// 000000008C80: D3F3005C 1D72056A
	v_mfma_f32_16x16x32_fp8_fp8 v[92:95], a[108:109], a[4:5], v[92:95]// 000000008C88: D3F3005C 1D72096C
	v_mfma_f32_16x16x32_fp8_fp8 v[92:95], a[110:111], a[6:7], v[92:95]// 000000008C90: D3F3005C 1D720D6E
	v_mfma_f32_16x16x32_fp8_fp8 v[72:75], a[96:97], a[8:9], v[72:75]// 000000008C98: D3F30048 1D221160
	buffer_load_dwordx4 a[136:139], v67, s[24:27], 0 offen     // 000000008CA0: E05C1000 80868843
	v_mfma_f32_16x16x32_fp8_fp8 v[72:75], a[98:99], a[10:11], v[72:75]// 000000008CA8: D3F30048 1D221562
	v_mfma_f32_16x16x32_fp8_fp8 v[72:75], a[100:101], a[12:13], v[72:75]// 000000008CB0: D3F30048 1D221964
	v_mfma_f32_16x16x32_fp8_fp8 v[72:75], a[102:103], a[14:15], v[72:75]// 000000008CB8: D3F30048 1D221D66
	v_mfma_f32_16x16x32_fp8_fp8 v[96:99], a[104:105], a[8:9], v[96:99]// 000000008CC0: D3F30060 1D821168
	buffer_load_dwordx4 a[140:143], v67, s[24:27], 0 offen offset:1024// 000000008CC8: E05C1400 80868C43
	buffer_load_dword v54, s[20:23], 0 offen lds               // 000000008CD0: E0511000 80050036
	s_add_u32 m0, 0x100, s50                                   // 000000008CD8: 807C32FF 00000100
	v_mfma_f32_16x16x32_fp8_fp8 v[96:99], a[106:107], a[10:11], v[96:99]// 000000008CE0: D3F30060 1D82156A
	v_mfma_f32_16x16x32_fp8_fp8 v[96:99], a[108:109], a[12:13], v[96:99]// 000000008CE8: D3F30060 1D82196C
	buffer_load_dword v55, s[20:23], 0 offen lds               // 000000008CF0: E0511000 80050037
	s_add_u32 m0, 0x200, s50                                   // 000000008CF8: 807C32FF 00000200
	v_mfma_f32_16x16x32_fp8_fp8 v[96:99], a[110:111], a[14:15], v[96:99]// 000000008D00: D3F30060 1D821D6E
	v_mfma_f32_16x16x32_fp8_fp8 v[76:79], a[96:97], a[16:17], v[76:79]// 000000008D08: D3F3004C 1D322160
	buffer_load_dword v56, s[20:23], 0 offen lds               // 000000008D10: E0511000 80050038
	s_add_u32 m0, 0x300, s50                                   // 000000008D18: 807C32FF 00000300
	v_mfma_f32_16x16x32_fp8_fp8 v[76:79], a[98:99], a[18:19], v[76:79]// 000000008D20: D3F3004C 1D322562
	v_mfma_f32_16x16x32_fp8_fp8 v[76:79], a[100:101], a[20:21], v[76:79]// 000000008D28: D3F3004C 1D322964
	buffer_load_dword v57, s[20:23], 0 offen lds               // 000000008D30: E0511000 80050039
	s_add_u32 m0, 0x400, s50                                   // 000000008D38: 807C32FF 00000400
	v_mfma_f32_16x16x32_fp8_fp8 v[76:79], a[102:103], a[22:23], v[76:79]// 000000008D40: D3F3004C 1D322D66
	v_mfma_f32_16x16x32_fp8_fp8 v[100:103], a[104:105], a[16:17], v[100:103]// 000000008D48: D3F30064 1D922168
	buffer_load_dword v58, s[20:23], 0 offen lds               // 000000008D50: E0511000 8005003A
	s_add_u32 m0, 0x500, s50                                   // 000000008D58: 807C32FF 00000500
	v_mfma_f32_16x16x32_fp8_fp8 v[100:103], a[106:107], a[18:19], v[100:103]// 000000008D60: D3F30064 1D92256A
	v_mfma_f32_16x16x32_fp8_fp8 v[100:103], a[108:109], a[20:21], v[100:103]// 000000008D68: D3F30064 1D92296C
	buffer_load_dword v59, s[20:23], 0 offen lds               // 000000008D70: E0511000 8005003B
	s_add_u32 m0, 0x600, s50                                   // 000000008D78: 807C32FF 00000600
	v_mfma_f32_16x16x32_fp8_fp8 v[100:103], a[110:111], a[22:23], v[100:103]// 000000008D80: D3F30064 1D922D6E
	v_mfma_f32_16x16x32_fp8_fp8 v[80:83], a[96:97], a[24:25], v[80:83]// 000000008D88: D3F30050 1D423160
	buffer_load_dword v60, s[20:23], 0 offen lds               // 000000008D90: E0511000 8005003C
	s_add_u32 m0, 0x700, s50                                   // 000000008D98: 807C32FF 00000700
	v_mfma_f32_16x16x32_fp8_fp8 v[80:83], a[98:99], a[26:27], v[80:83]// 000000008DA0: D3F30050 1D423562
	v_mfma_f32_16x16x32_fp8_fp8 v[80:83], a[100:101], a[28:29], v[80:83]// 000000008DA8: D3F30050 1D423964
	buffer_load_dword v61, s[20:23], 0 offen lds               // 000000008DB0: E0511000 8005003D
	s_add_u32 m0, 0x800, s50                                   // 000000008DB8: 807C32FF 00000800
	v_mfma_f32_16x16x32_fp8_fp8 v[80:83], a[102:103], a[30:31], v[80:83]// 000000008DC0: D3F30050 1D423D66
	v_mfma_f32_16x16x32_fp8_fp8 v[104:107], a[104:105], a[24:25], v[104:107]// 000000008DC8: D3F30068 1DA23168
	buffer_load_dword v62, s[20:23], 0 offen lds               // 000000008DD0: E0511000 8005003E
	s_add_u32 m0, 0x900, s50                                   // 000000008DD8: 807C32FF 00000900
	v_mfma_f32_16x16x32_fp8_fp8 v[104:107], a[106:107], a[26:27], v[104:107]// 000000008DE0: D3F30068 1DA2356A
	v_mfma_f32_16x16x32_fp8_fp8 v[104:107], a[108:109], a[28:29], v[104:107]// 000000008DE8: D3F30068 1DA2396C
	buffer_load_dword v63, s[20:23], 0 offen lds               // 000000008DF0: E0511000 8005003F
	s_add_u32 m0, 0xa00, s50                                   // 000000008DF8: 807C32FF 00000A00
	v_mfma_f32_16x16x32_fp8_fp8 v[104:107], a[110:111], a[30:31], v[104:107]// 000000008E00: D3F30068 1DA23D6E
	v_mfma_f32_16x16x32_fp8_fp8 v[84:87], a[96:97], a[32:33], v[84:87]// 000000008E08: D3F30054 1D524160
	buffer_load_dword v64, s[20:23], 0 offen lds               // 000000008E10: E0511000 80050040
	s_add_u32 m0, 0xb00, s50                                   // 000000008E18: 807C32FF 00000B00
	v_mfma_f32_16x16x32_fp8_fp8 v[84:87], a[98:99], a[34:35], v[84:87]// 000000008E20: D3F30054 1D524562
	v_mfma_f32_16x16x32_fp8_fp8 v[84:87], a[100:101], a[36:37], v[84:87]// 000000008E28: D3F30054 1D524964
	buffer_load_dword v65, s[20:23], 0 offen lds               // 000000008E30: E0511000 80050041
	s_add_u32 m0, 0, s48                                       // 000000008E38: 807C3080
	v_mfma_f32_16x16x32_fp8_fp8 v[84:87], a[102:103], a[38:39], v[84:87]// 000000008E3C: D3F30054 1D524D66
	v_mfma_f32_16x16x32_fp8_fp8 v[108:111], a[104:105], a[32:33], v[108:111]// 000000008E44: D3F3006C 1DB24168
	v_mfma_f32_16x16x32_fp8_fp8 v[108:111], a[106:107], a[34:35], v[108:111]// 000000008E4C: D3F3006C 1DB2456A
	v_mfma_f32_16x16x32_fp8_fp8 v[108:111], a[108:109], a[36:37], v[108:111]// 000000008E54: D3F3006C 1DB2496C
	v_mfma_f32_16x16x32_fp8_fp8 v[108:111], a[110:111], a[38:39], v[108:111]// 000000008E5C: D3F3006C 1DB24D6E
	v_mfma_f32_16x16x32_fp8_fp8 v[88:91], a[96:97], a[40:41], v[88:91]// 000000008E64: D3F30058 1D625160
	v_mfma_f32_16x16x32_fp8_fp8 v[88:91], a[98:99], a[42:43], v[88:91]// 000000008E6C: D3F30058 1D625562
	v_mfma_f32_16x16x32_fp8_fp8 v[88:91], a[100:101], a[44:45], v[88:91]// 000000008E74: D3F30058 1D625964
	v_mfma_f32_16x16x32_fp8_fp8 v[88:91], a[102:103], a[46:47], v[88:91]// 000000008E7C: D3F30058 1D625D66
	v_mfma_f32_16x16x32_fp8_fp8 v[112:115], a[104:105], a[40:41], v[112:115]// 000000008E84: D3F30070 1DC25168
	v_mfma_f32_16x16x32_fp8_fp8 v[112:115], a[106:107], a[42:43], v[112:115]// 000000008E8C: D3F30070 1DC2556A
	v_mfma_f32_16x16x32_fp8_fp8 v[112:115], a[108:109], a[44:45], v[112:115]// 000000008E94: D3F30070 1DC2596C
	v_mfma_f32_16x16x32_fp8_fp8 v[112:115], a[110:111], a[46:47], v[112:115]// 000000008E9C: D3F30070 1DC25D6E
	s_waitcnt vmcnt(16)                                        // 000000008EA4: BF8C4F70
	s_barrier                                                  // 000000008EA8: BF8A0000
	v_mfma_f32_16x16x32_fp8_fp8 v[116:119], a[112:113], a[0:1], v[116:119]// 000000008EAC: D3F30074 1DD20170
	buffer_load_dwordx4 a[96:99], v66, s[84:87], 0 offen       // 000000008EB4: E05C1000 80956042
	v_mfma_f32_16x16x32_fp8_fp8 v[116:119], a[114:115], a[2:3], v[116:119]// 000000008EBC: D3F30074 1DD20572
	v_mfma_f32_16x16x32_fp8_fp8 v[116:119], a[116:117], a[4:5], v[116:119]// 000000008EC4: D3F30074 1DD20974
	ds_read_b128 a[48:51], v2 offset:12416                     // 000000008ECC: DBFE3080 30000002
	ds_read_b128 a[52:55], v2 offset:12480                     // 000000008ED4: DBFE30C0 34000002
	v_mfma_f32_16x16x32_fp8_fp8 v[116:119], a[118:119], a[6:7], v[116:119]// 000000008EDC: D3F30074 1DD20D76
	v_mfma_f32_16x16x32_fp8_fp8 v[140:143], a[120:121], a[0:1], v[140:143]// 000000008EE4: D3F3008C 1E320178
	buffer_load_dwordx4 a[100:103], v66, s[84:87], 0 offen offset:1024// 000000008EEC: E05C1400 80956442
	v_mfma_f32_16x16x32_fp8_fp8 v[140:143], a[122:123], a[2:3], v[140:143]// 000000008EF4: D3F3008C 1E32057A
	v_mfma_f32_16x16x32_fp8_fp8 v[140:143], a[124:125], a[4:5], v[140:143]// 000000008EFC: D3F3008C 1E32097C
	ds_read_b128 a[56:59], v2 offset:12928                     // 000000008F04: DBFE3280 38000002
	ds_read_b128 a[60:63], v2 offset:12992                     // 000000008F0C: DBFE32C0 3C000002
	v_mfma_f32_16x16x32_fp8_fp8 v[140:143], a[126:127], a[6:7], v[140:143]// 000000008F14: D3F3008C 1E320D7E
	v_mfma_f32_16x16x32_fp8_fp8 v[120:123], a[112:113], a[8:9], v[120:123]// 000000008F1C: D3F30078 1DE21170
	buffer_load_dwordx4 a[104:107], v67, s[84:87], 0 offen     // 000000008F24: E05C1000 80956843
	v_mfma_f32_16x16x32_fp8_fp8 v[120:123], a[114:115], a[10:11], v[120:123]// 000000008F2C: D3F30078 1DE21572
	v_mfma_f32_16x16x32_fp8_fp8 v[120:123], a[116:117], a[12:13], v[120:123]// 000000008F34: D3F30078 1DE21974
	ds_read_b128 a[64:67], v2 offset:13440                     // 000000008F3C: DBFE3480 40000002
	ds_read_b128 a[68:71], v2 offset:13504                     // 000000008F44: DBFE34C0 44000002
	v_mfma_f32_16x16x32_fp8_fp8 v[120:123], a[118:119], a[14:15], v[120:123]// 000000008F4C: D3F30078 1DE21D76
	v_mfma_f32_16x16x32_fp8_fp8 v[144:147], a[120:121], a[8:9], v[144:147]// 000000008F54: D3F30090 1E421178
	buffer_load_dwordx4 a[108:111], v67, s[84:87], 0 offen offset:1024// 000000008F5C: E05C1400 80956C43
	v_mfma_f32_16x16x32_fp8_fp8 v[144:147], a[122:123], a[10:11], v[144:147]// 000000008F64: D3F30090 1E42157A
	v_mfma_f32_16x16x32_fp8_fp8 v[144:147], a[124:125], a[12:13], v[144:147]// 000000008F6C: D3F30090 1E42197C
	ds_read_b128 a[72:75], v2 offset:13952                     // 000000008F74: DBFE3680 48000002
	ds_read_b128 a[76:79], v2 offset:14016                     // 000000008F7C: DBFE36C0 4C000002
	v_mfma_f32_16x16x32_fp8_fp8 v[144:147], a[126:127], a[14:15], v[144:147]// 000000008F84: D3F30090 1E421D7E
	v_mfma_f32_16x16x32_fp8_fp8 v[124:127], a[112:113], a[16:17], v[124:127]// 000000008F8C: D3F3007C 1DF22170
	v_mfma_f32_16x16x32_fp8_fp8 v[124:127], a[114:115], a[18:19], v[124:127]// 000000008F94: D3F3007C 1DF22572
	v_mfma_f32_16x16x32_fp8_fp8 v[124:127], a[116:117], a[20:21], v[124:127]// 000000008F9C: D3F3007C 1DF22974
	ds_read_b128 a[80:83], v2 offset:14464                     // 000000008FA4: DBFE3880 50000002
	ds_read_b128 a[84:87], v2 offset:14528                     // 000000008FAC: DBFE38C0 54000002
	v_mfma_f32_16x16x32_fp8_fp8 v[124:127], a[118:119], a[22:23], v[124:127]// 000000008FB4: D3F3007C 1DF22D76
	v_mfma_f32_16x16x32_fp8_fp8 v[148:151], a[120:121], a[16:17], v[148:151]// 000000008FBC: D3F30094 1E522178
	v_mfma_f32_16x16x32_fp8_fp8 v[148:151], a[122:123], a[18:19], v[148:151]// 000000008FC4: D3F30094 1E52257A
	v_mfma_f32_16x16x32_fp8_fp8 v[148:151], a[124:125], a[20:21], v[148:151]// 000000008FCC: D3F30094 1E52297C
	ds_read_b128 a[88:91], v2 offset:14976                     // 000000008FD4: DBFE3A80 58000002
	ds_read_b128 a[92:95], v2 offset:15040                     // 000000008FDC: DBFE3AC0 5C000002
	v_mfma_f32_16x16x32_fp8_fp8 v[148:151], a[126:127], a[22:23], v[148:151]// 000000008FE4: D3F30094 1E522D7E
	v_mfma_f32_16x16x32_fp8_fp8 v[128:131], a[112:113], a[24:25], v[128:131]// 000000008FEC: D3F30080 1E023170
	v_mfma_f32_16x16x32_fp8_fp8 v[128:131], a[114:115], a[26:27], v[128:131]// 000000008FF4: D3F30080 1E023572
	v_mfma_f32_16x16x32_fp8_fp8 v[128:131], a[116:117], a[28:29], v[128:131]// 000000008FFC: D3F30080 1E023974
	v_mfma_f32_16x16x32_fp8_fp8 v[128:131], a[118:119], a[30:31], v[128:131]// 000000009004: D3F30080 1E023D76
	v_mfma_f32_16x16x32_fp8_fp8 v[152:155], a[120:121], a[24:25], v[152:155]// 00000000900C: D3F30098 1E623178
	v_mfma_f32_16x16x32_fp8_fp8 v[152:155], a[122:123], a[26:27], v[152:155]// 000000009014: D3F30098 1E62357A
	v_mfma_f32_16x16x32_fp8_fp8 v[152:155], a[124:125], a[28:29], v[152:155]// 00000000901C: D3F30098 1E62397C
	v_mfma_f32_16x16x32_fp8_fp8 v[152:155], a[126:127], a[30:31], v[152:155]// 000000009024: D3F30098 1E623D7E
	v_mfma_f32_16x16x32_fp8_fp8 v[132:135], a[112:113], a[32:33], v[132:135]// 00000000902C: D3F30084 1E124170
	v_mfma_f32_16x16x32_fp8_fp8 v[132:135], a[114:115], a[34:35], v[132:135]// 000000009034: D3F30084 1E124572
	v_mfma_f32_16x16x32_fp8_fp8 v[132:135], a[116:117], a[36:37], v[132:135]// 00000000903C: D3F30084 1E124974
	v_mfma_f32_16x16x32_fp8_fp8 v[132:135], a[118:119], a[38:39], v[132:135]// 000000009044: D3F30084 1E124D76
	v_mfma_f32_16x16x32_fp8_fp8 v[156:159], a[120:121], a[32:33], v[156:159]// 00000000904C: D3F3009C 1E724178
	v_mfma_f32_16x16x32_fp8_fp8 v[156:159], a[122:123], a[34:35], v[156:159]// 000000009054: D3F3009C 1E72457A
	v_mfma_f32_16x16x32_fp8_fp8 v[156:159], a[124:125], a[36:37], v[156:159]// 00000000905C: D3F3009C 1E72497C
	v_mfma_f32_16x16x32_fp8_fp8 v[156:159], a[126:127], a[38:39], v[156:159]// 000000009064: D3F3009C 1E724D7E
	v_mfma_f32_16x16x32_fp8_fp8 v[136:139], a[112:113], a[40:41], v[136:139]// 00000000906C: D3F30088 1E225170
	s_add_u32 s60, 0x180, s80                                  // 000000009074: 803C50FF 00000180
	s_cmp_lt_u32 s60, s81                                      // 00000000907C: BF0A513C
	s_cselect_b32 s57, s57, 0                                  // 000000009080: 85398039
	v_mfma_f32_16x16x32_fp8_fp8 v[136:139], a[114:115], a[42:43], v[136:139]// 000000009084: D3F30088 1E225572
	s_add_u32 s60, 0x100, s80                                  // 00000000908C: 803C50FF 00000100
	s_cmp_lt_u32 s60, s81                                      // 000000009094: BF0A513C
	s_cselect_b32 s58, s58, 0                                  // 000000009098: 853A803A
	v_mfma_f32_16x16x32_fp8_fp8 v[136:139], a[116:117], a[44:45], v[136:139]// 00000000909C: D3F30088 1E225974
	s_add_u32 s60, 0x100, s80                                  // 0000000090A4: 803C50FF 00000100
	s_cmp_lt_u32 s60, s81                                      // 0000000090AC: BF0A513C
	s_cselect_b32 s83, s83, 0                                  // 0000000090B0: 85538053
	v_mfma_f32_16x16x32_fp8_fp8 v[136:139], a[118:119], a[46:47], v[136:139]// 0000000090B4: D3F30088 1E225D76
	s_add_u32 s24, s58, s24                                    // 0000000090BC: 8018183A
	s_addc_u32 s25, 0, s25                                     // 0000000090C0: 82191980
	v_mfma_f32_16x16x32_fp8_fp8 v[160:163], a[120:121], a[40:41], v[160:163]// 0000000090C4: D3F300A0 1E825178
	s_add_u32 s20, s57, s20                                    // 0000000090CC: 80141439
	s_addc_u32 s21, 0, s21                                     // 0000000090D0: 82151580
	v_mfma_f32_16x16x32_fp8_fp8 v[160:163], a[122:123], a[42:43], v[160:163]// 0000000090D4: D3F300A0 1E82557A
	s_add_u32 s84, s83, s84                                    // 0000000090DC: 80545453
	s_addc_u32 s85, 0, s85                                     // 0000000090E0: 82555580
	v_mfma_f32_16x16x32_fp8_fp8 v[160:163], a[124:125], a[44:45], v[160:163]// 0000000090E4: D3F300A0 1E82597C
	v_mfma_f32_16x16x32_fp8_fp8 v[160:163], a[126:127], a[46:47], v[160:163]// 0000000090EC: D3F300A0 1E825D7E
	s_addk_i32 s80, 0x80                                       // 0000000090F4: B7500080
	s_cmp_lt_i32 s80, s81                                      // 0000000090F8: BF045150
	s_cbranch_scc0 label_1FAF                                  // 0000000090FC: BF8405EC
	s_waitcnt vmcnt(16) lgkmcnt(0)                             // 000000009100: BF8C4070
	v_mfma_f32_16x16x32_fp8_fp8 v[68:71], a[128:129], a[48:49], v[68:71]// 000000009104: D3F30044 1D126180
	buffer_load_dwordx4 a[112:115], v66, s[24:27], 0 offen     // 00000000910C: E05C1000 80867042
	v_mfma_f32_16x16x32_fp8_fp8 v[68:71], a[130:131], a[50:51], v[68:71]// 000000009114: D3F30044 1D126582
	v_mfma_f32_16x16x32_fp8_fp8 v[68:71], a[132:133], a[52:53], v[68:71]// 00000000911C: D3F30044 1D126984
	v_mfma_f32_16x16x32_fp8_fp8 v[68:71], a[134:135], a[54:55], v[68:71]// 000000009124: D3F30044 1D126D86
	v_mfma_f32_16x16x32_fp8_fp8 v[92:95], a[136:137], a[48:49], v[92:95]// 00000000912C: D3F3005C 1D726188
	buffer_load_dwordx4 a[116:119], v66, s[24:27], 0 offen offset:1024// 000000009134: E05C1400 80867442
	v_mfma_f32_16x16x32_fp8_fp8 v[92:95], a[138:139], a[50:51], v[92:95]// 00000000913C: D3F3005C 1D72658A
	v_mfma_f32_16x16x32_fp8_fp8 v[92:95], a[140:141], a[52:53], v[92:95]// 000000009144: D3F3005C 1D72698C
	v_mfma_f32_16x16x32_fp8_fp8 v[92:95], a[142:143], a[54:55], v[92:95]// 00000000914C: D3F3005C 1D726D8E
	v_mfma_f32_16x16x32_fp8_fp8 v[72:75], a[128:129], a[56:57], v[72:75]// 000000009154: D3F30048 1D227180
	buffer_load_dwordx4 a[120:123], v67, s[24:27], 0 offen     // 00000000915C: E05C1000 80867843
	v_mfma_f32_16x16x32_fp8_fp8 v[72:75], a[130:131], a[58:59], v[72:75]// 000000009164: D3F30048 1D227582
	v_mfma_f32_16x16x32_fp8_fp8 v[72:75], a[132:133], a[60:61], v[72:75]// 00000000916C: D3F30048 1D227984
	v_mfma_f32_16x16x32_fp8_fp8 v[72:75], a[134:135], a[62:63], v[72:75]// 000000009174: D3F30048 1D227D86
	v_mfma_f32_16x16x32_fp8_fp8 v[96:99], a[136:137], a[56:57], v[96:99]// 00000000917C: D3F30060 1D827188
	buffer_load_dwordx4 a[124:127], v67, s[24:27], 0 offen offset:1024// 000000009184: E05C1400 80867C43
	buffer_load_dword v54, s[20:23], 0 offen lds               // 00000000918C: E0511000 80050036
	s_add_u32 m0, 0x100, s48                                   // 000000009194: 807C30FF 00000100
	v_mfma_f32_16x16x32_fp8_fp8 v[96:99], a[138:139], a[58:59], v[96:99]// 00000000919C: D3F30060 1D82758A
	v_mfma_f32_16x16x32_fp8_fp8 v[96:99], a[140:141], a[60:61], v[96:99]// 0000000091A4: D3F30060 1D82798C
	buffer_load_dword v55, s[20:23], 0 offen lds               // 0000000091AC: E0511000 80050037
	s_add_u32 m0, 0x200, s48                                   // 0000000091B4: 807C30FF 00000200
	v_mfma_f32_16x16x32_fp8_fp8 v[96:99], a[142:143], a[62:63], v[96:99]// 0000000091BC: D3F30060 1D827D8E
	v_mfma_f32_16x16x32_fp8_fp8 v[76:79], a[128:129], a[64:65], v[76:79]// 0000000091C4: D3F3004C 1D328180
	buffer_load_dword v56, s[20:23], 0 offen lds               // 0000000091CC: E0511000 80050038
	s_add_u32 m0, 0x300, s48                                   // 0000000091D4: 807C30FF 00000300
	v_mfma_f32_16x16x32_fp8_fp8 v[76:79], a[130:131], a[66:67], v[76:79]// 0000000091DC: D3F3004C 1D328582
	v_mfma_f32_16x16x32_fp8_fp8 v[76:79], a[132:133], a[68:69], v[76:79]// 0000000091E4: D3F3004C 1D328984
	buffer_load_dword v57, s[20:23], 0 offen lds               // 0000000091EC: E0511000 80050039
	s_add_u32 m0, 0x400, s48                                   // 0000000091F4: 807C30FF 00000400
	v_mfma_f32_16x16x32_fp8_fp8 v[76:79], a[134:135], a[70:71], v[76:79]// 0000000091FC: D3F3004C 1D328D86
	v_mfma_f32_16x16x32_fp8_fp8 v[100:103], a[136:137], a[64:65], v[100:103]// 000000009204: D3F30064 1D928188
	buffer_load_dword v58, s[20:23], 0 offen lds               // 00000000920C: E0511000 8005003A
	s_add_u32 m0, 0x500, s48                                   // 000000009214: 807C30FF 00000500
	v_mfma_f32_16x16x32_fp8_fp8 v[100:103], a[138:139], a[66:67], v[100:103]// 00000000921C: D3F30064 1D92858A
	v_mfma_f32_16x16x32_fp8_fp8 v[100:103], a[140:141], a[68:69], v[100:103]// 000000009224: D3F30064 1D92898C
	buffer_load_dword v59, s[20:23], 0 offen lds               // 00000000922C: E0511000 8005003B
	s_add_u32 m0, 0x600, s48                                   // 000000009234: 807C30FF 00000600
	v_mfma_f32_16x16x32_fp8_fp8 v[100:103], a[142:143], a[70:71], v[100:103]// 00000000923C: D3F30064 1D928D8E
	v_mfma_f32_16x16x32_fp8_fp8 v[80:83], a[128:129], a[72:73], v[80:83]// 000000009244: D3F30050 1D429180
	buffer_load_dword v60, s[20:23], 0 offen lds               // 00000000924C: E0511000 8005003C
	s_add_u32 m0, 0x700, s48                                   // 000000009254: 807C30FF 00000700
	v_mfma_f32_16x16x32_fp8_fp8 v[80:83], a[130:131], a[74:75], v[80:83]// 00000000925C: D3F30050 1D429582
	v_mfma_f32_16x16x32_fp8_fp8 v[80:83], a[132:133], a[76:77], v[80:83]// 000000009264: D3F30050 1D429984
	buffer_load_dword v61, s[20:23], 0 offen lds               // 00000000926C: E0511000 8005003D
	s_add_u32 m0, 0x800, s48                                   // 000000009274: 807C30FF 00000800
	v_mfma_f32_16x16x32_fp8_fp8 v[80:83], a[134:135], a[78:79], v[80:83]// 00000000927C: D3F30050 1D429D86
	v_mfma_f32_16x16x32_fp8_fp8 v[104:107], a[136:137], a[72:73], v[104:107]// 000000009284: D3F30068 1DA29188
	buffer_load_dword v62, s[20:23], 0 offen lds               // 00000000928C: E0511000 8005003E
	s_add_u32 m0, 0x900, s48                                   // 000000009294: 807C30FF 00000900
	v_mfma_f32_16x16x32_fp8_fp8 v[104:107], a[138:139], a[74:75], v[104:107]// 00000000929C: D3F30068 1DA2958A
	v_mfma_f32_16x16x32_fp8_fp8 v[104:107], a[140:141], a[76:77], v[104:107]// 0000000092A4: D3F30068 1DA2998C
	buffer_load_dword v63, s[20:23], 0 offen lds               // 0000000092AC: E0511000 8005003F
	s_add_u32 m0, 0xa00, s48                                   // 0000000092B4: 807C30FF 00000A00
	v_mfma_f32_16x16x32_fp8_fp8 v[104:107], a[142:143], a[78:79], v[104:107]// 0000000092BC: D3F30068 1DA29D8E
	v_mfma_f32_16x16x32_fp8_fp8 v[84:87], a[128:129], a[80:81], v[84:87]// 0000000092C4: D3F30054 1D52A180
	buffer_load_dword v64, s[20:23], 0 offen lds               // 0000000092CC: E0511000 80050040
	s_add_u32 m0, 0xb00, s48                                   // 0000000092D4: 807C30FF 00000B00
	v_mfma_f32_16x16x32_fp8_fp8 v[84:87], a[130:131], a[82:83], v[84:87]// 0000000092DC: D3F30054 1D52A582
	v_mfma_f32_16x16x32_fp8_fp8 v[84:87], a[132:133], a[84:85], v[84:87]// 0000000092E4: D3F30054 1D52A984
	buffer_load_dword v65, s[20:23], 0 offen lds               // 0000000092EC: E0511000 80050041
	s_add_u32 m0, 0, s49                                       // 0000000092F4: 807C3180
	v_mfma_f32_16x16x32_fp8_fp8 v[84:87], a[134:135], a[86:87], v[84:87]// 0000000092F8: D3F30054 1D52AD86
	v_mfma_f32_16x16x32_fp8_fp8 v[108:111], a[136:137], a[80:81], v[108:111]// 000000009300: D3F3006C 1DB2A188
	v_mfma_f32_16x16x32_fp8_fp8 v[108:111], a[138:139], a[82:83], v[108:111]// 000000009308: D3F3006C 1DB2A58A
	v_mfma_f32_16x16x32_fp8_fp8 v[108:111], a[140:141], a[84:85], v[108:111]// 000000009310: D3F3006C 1DB2A98C
	v_mfma_f32_16x16x32_fp8_fp8 v[108:111], a[142:143], a[86:87], v[108:111]// 000000009318: D3F3006C 1DB2AD8E
	v_mfma_f32_16x16x32_fp8_fp8 v[88:91], a[128:129], a[88:89], v[88:91]// 000000009320: D3F30058 1D62B180
	v_mfma_f32_16x16x32_fp8_fp8 v[88:91], a[130:131], a[90:91], v[88:91]// 000000009328: D3F30058 1D62B582
	v_mfma_f32_16x16x32_fp8_fp8 v[88:91], a[132:133], a[92:93], v[88:91]// 000000009330: D3F30058 1D62B984
	v_mfma_f32_16x16x32_fp8_fp8 v[88:91], a[134:135], a[94:95], v[88:91]// 000000009338: D3F30058 1D62BD86
	v_mfma_f32_16x16x32_fp8_fp8 v[112:115], a[136:137], a[88:89], v[112:115]// 000000009340: D3F30070 1DC2B188
	v_mfma_f32_16x16x32_fp8_fp8 v[112:115], a[138:139], a[90:91], v[112:115]// 000000009348: D3F30070 1DC2B58A
	v_mfma_f32_16x16x32_fp8_fp8 v[112:115], a[140:141], a[92:93], v[112:115]// 000000009350: D3F30070 1DC2B98C
	v_mfma_f32_16x16x32_fp8_fp8 v[112:115], a[142:143], a[94:95], v[112:115]// 000000009358: D3F30070 1DC2BD8E
	s_waitcnt vmcnt(16)                                        // 000000009360: BF8C4F70
	s_barrier                                                  // 000000009364: BF8A0000
	v_mfma_f32_16x16x32_fp8_fp8 v[116:119], a[96:97], a[48:49], v[116:119]// 000000009368: D3F30074 1DD26160
	buffer_load_dwordx4 a[128:131], v66, s[84:87], 0 offen     // 000000009370: E05C1000 80958042
	v_mfma_f32_16x16x32_fp8_fp8 v[116:119], a[98:99], a[50:51], v[116:119]// 000000009378: D3F30074 1DD26562
	v_mfma_f32_16x16x32_fp8_fp8 v[116:119], a[100:101], a[52:53], v[116:119]// 000000009380: D3F30074 1DD26964
	ds_read_b128 a[0:3], v2 offset:24832                       // 000000009388: DBFE6100 00000002
	ds_read_b128 a[4:7], v2 offset:24896                       // 000000009390: DBFE6140 04000002
	v_mfma_f32_16x16x32_fp8_fp8 v[116:119], a[102:103], a[54:55], v[116:119]// 000000009398: D3F30074 1DD26D66
	v_mfma_f32_16x16x32_fp8_fp8 v[140:143], a[104:105], a[48:49], v[140:143]// 0000000093A0: D3F3008C 1E326168
	buffer_load_dwordx4 a[132:135], v66, s[84:87], 0 offen offset:1024// 0000000093A8: E05C1400 80958442
	v_mfma_f32_16x16x32_fp8_fp8 v[140:143], a[106:107], a[50:51], v[140:143]// 0000000093B0: D3F3008C 1E32656A
	v_mfma_f32_16x16x32_fp8_fp8 v[140:143], a[108:109], a[52:53], v[140:143]// 0000000093B8: D3F3008C 1E32696C
	ds_read_b128 a[8:11], v2 offset:25344                      // 0000000093C0: DBFE6300 08000002
	ds_read_b128 a[12:15], v2 offset:25408                     // 0000000093C8: DBFE6340 0C000002
	v_mfma_f32_16x16x32_fp8_fp8 v[140:143], a[110:111], a[54:55], v[140:143]// 0000000093D0: D3F3008C 1E326D6E
	v_mfma_f32_16x16x32_fp8_fp8 v[120:123], a[96:97], a[56:57], v[120:123]// 0000000093D8: D3F30078 1DE27160
	buffer_load_dwordx4 a[136:139], v67, s[84:87], 0 offen     // 0000000093E0: E05C1000 80958843
	v_mfma_f32_16x16x32_fp8_fp8 v[120:123], a[98:99], a[58:59], v[120:123]// 0000000093E8: D3F30078 1DE27562
	v_mfma_f32_16x16x32_fp8_fp8 v[120:123], a[100:101], a[60:61], v[120:123]// 0000000093F0: D3F30078 1DE27964
	ds_read_b128 a[16:19], v2 offset:25856                     // 0000000093F8: DBFE6500 10000002
	ds_read_b128 a[20:23], v2 offset:25920                     // 000000009400: DBFE6540 14000002
	v_mfma_f32_16x16x32_fp8_fp8 v[120:123], a[102:103], a[62:63], v[120:123]// 000000009408: D3F30078 1DE27D66
	v_mfma_f32_16x16x32_fp8_fp8 v[144:147], a[104:105], a[56:57], v[144:147]// 000000009410: D3F30090 1E427168
	buffer_load_dwordx4 a[140:143], v67, s[84:87], 0 offen offset:1024// 000000009418: E05C1400 80958C43
	v_mfma_f32_16x16x32_fp8_fp8 v[144:147], a[106:107], a[58:59], v[144:147]// 000000009420: D3F30090 1E42756A
	v_mfma_f32_16x16x32_fp8_fp8 v[144:147], a[108:109], a[60:61], v[144:147]// 000000009428: D3F30090 1E42796C
	ds_read_b128 a[24:27], v2 offset:26368                     // 000000009430: DBFE6700 18000002
	ds_read_b128 a[28:31], v2 offset:26432                     // 000000009438: DBFE6740 1C000002
	v_mfma_f32_16x16x32_fp8_fp8 v[144:147], a[110:111], a[62:63], v[144:147]// 000000009440: D3F30090 1E427D6E
	v_mfma_f32_16x16x32_fp8_fp8 v[124:127], a[96:97], a[64:65], v[124:127]// 000000009448: D3F3007C 1DF28160
	v_mfma_f32_16x16x32_fp8_fp8 v[124:127], a[98:99], a[66:67], v[124:127]// 000000009450: D3F3007C 1DF28562
	v_mfma_f32_16x16x32_fp8_fp8 v[124:127], a[100:101], a[68:69], v[124:127]// 000000009458: D3F3007C 1DF28964
	ds_read_b128 a[32:35], v2 offset:26880                     // 000000009460: DBFE6900 20000002
	ds_read_b128 a[36:39], v2 offset:26944                     // 000000009468: DBFE6940 24000002
	v_mfma_f32_16x16x32_fp8_fp8 v[124:127], a[102:103], a[70:71], v[124:127]// 000000009470: D3F3007C 1DF28D66
	v_mfma_f32_16x16x32_fp8_fp8 v[148:151], a[104:105], a[64:65], v[148:151]// 000000009478: D3F30094 1E528168
	v_mfma_f32_16x16x32_fp8_fp8 v[148:151], a[106:107], a[66:67], v[148:151]// 000000009480: D3F30094 1E52856A
	v_mfma_f32_16x16x32_fp8_fp8 v[148:151], a[108:109], a[68:69], v[148:151]// 000000009488: D3F30094 1E52896C
	ds_read_b128 a[40:43], v2 offset:27392                     // 000000009490: DBFE6B00 28000002
	ds_read_b128 a[44:47], v2 offset:27456                     // 000000009498: DBFE6B40 2C000002
	v_mfma_f32_16x16x32_fp8_fp8 v[148:151], a[110:111], a[70:71], v[148:151]// 0000000094A0: D3F30094 1E528D6E
	v_mfma_f32_16x16x32_fp8_fp8 v[128:131], a[96:97], a[72:73], v[128:131]// 0000000094A8: D3F30080 1E029160
	v_mfma_f32_16x16x32_fp8_fp8 v[128:131], a[98:99], a[74:75], v[128:131]// 0000000094B0: D3F30080 1E029562
	v_mfma_f32_16x16x32_fp8_fp8 v[128:131], a[100:101], a[76:77], v[128:131]// 0000000094B8: D3F30080 1E029964
	v_mfma_f32_16x16x32_fp8_fp8 v[128:131], a[102:103], a[78:79], v[128:131]// 0000000094C0: D3F30080 1E029D66
	v_mfma_f32_16x16x32_fp8_fp8 v[152:155], a[104:105], a[72:73], v[152:155]// 0000000094C8: D3F30098 1E629168
	v_mfma_f32_16x16x32_fp8_fp8 v[152:155], a[106:107], a[74:75], v[152:155]// 0000000094D0: D3F30098 1E62956A
	v_mfma_f32_16x16x32_fp8_fp8 v[152:155], a[108:109], a[76:77], v[152:155]// 0000000094D8: D3F30098 1E62996C
	v_mfma_f32_16x16x32_fp8_fp8 v[152:155], a[110:111], a[78:79], v[152:155]// 0000000094E0: D3F30098 1E629D6E
	v_mfma_f32_16x16x32_fp8_fp8 v[132:135], a[96:97], a[80:81], v[132:135]// 0000000094E8: D3F30084 1E12A160
	v_mfma_f32_16x16x32_fp8_fp8 v[132:135], a[98:99], a[82:83], v[132:135]// 0000000094F0: D3F30084 1E12A562
	v_mfma_f32_16x16x32_fp8_fp8 v[132:135], a[100:101], a[84:85], v[132:135]// 0000000094F8: D3F30084 1E12A964
	v_mfma_f32_16x16x32_fp8_fp8 v[132:135], a[102:103], a[86:87], v[132:135]// 000000009500: D3F30084 1E12AD66
	v_mfma_f32_16x16x32_fp8_fp8 v[156:159], a[104:105], a[80:81], v[156:159]// 000000009508: D3F3009C 1E72A168
	v_mfma_f32_16x16x32_fp8_fp8 v[156:159], a[106:107], a[82:83], v[156:159]// 000000009510: D3F3009C 1E72A56A
	v_mfma_f32_16x16x32_fp8_fp8 v[156:159], a[108:109], a[84:85], v[156:159]// 000000009518: D3F3009C 1E72A96C
	v_mfma_f32_16x16x32_fp8_fp8 v[156:159], a[110:111], a[86:87], v[156:159]// 000000009520: D3F3009C 1E72AD6E
	v_mfma_f32_16x16x32_fp8_fp8 v[136:139], a[96:97], a[88:89], v[136:139]// 000000009528: D3F30088 1E22B160
	s_add_u32 s60, 0x180, s80                                  // 000000009530: 803C50FF 00000180
	s_cmp_lt_u32 s60, s81                                      // 000000009538: BF0A513C
	s_cselect_b32 s57, s57, 0                                  // 00000000953C: 85398039
	v_mfma_f32_16x16x32_fp8_fp8 v[136:139], a[98:99], a[90:91], v[136:139]// 000000009540: D3F30088 1E22B562
	s_add_u32 s60, 0x100, s80                                  // 000000009548: 803C50FF 00000100
	s_cmp_lt_u32 s60, s81                                      // 000000009550: BF0A513C
	s_cselect_b32 s58, s58, 0                                  // 000000009554: 853A803A
	v_mfma_f32_16x16x32_fp8_fp8 v[136:139], a[100:101], a[92:93], v[136:139]// 000000009558: D3F30088 1E22B964
	s_add_u32 s60, 0x100, s80                                  // 000000009560: 803C50FF 00000100
	s_cmp_lt_u32 s60, s81                                      // 000000009568: BF0A513C
	s_cselect_b32 s83, s83, 0                                  // 00000000956C: 85538053
	v_mfma_f32_16x16x32_fp8_fp8 v[136:139], a[102:103], a[94:95], v[136:139]// 000000009570: D3F30088 1E22BD66
	s_add_u32 s24, s58, s24                                    // 000000009578: 8018183A
	s_addc_u32 s25, 0, s25                                     // 00000000957C: 82191980
	v_mfma_f32_16x16x32_fp8_fp8 v[160:163], a[104:105], a[88:89], v[160:163]// 000000009580: D3F300A0 1E82B168
	s_add_u32 s20, s57, s20                                    // 000000009588: 80141439
	s_addc_u32 s21, 0, s21                                     // 00000000958C: 82151580
	v_mfma_f32_16x16x32_fp8_fp8 v[160:163], a[106:107], a[90:91], v[160:163]// 000000009590: D3F300A0 1E82B56A
	s_add_u32 s84, s83, s84                                    // 000000009598: 80545453
	s_addc_u32 s85, 0, s85                                     // 00000000959C: 82555580
	v_mfma_f32_16x16x32_fp8_fp8 v[160:163], a[108:109], a[92:93], v[160:163]// 0000000095A0: D3F300A0 1E82B96C
	v_mfma_f32_16x16x32_fp8_fp8 v[160:163], a[110:111], a[94:95], v[160:163]// 0000000095A8: D3F300A0 1E82BD6E
	s_addk_i32 s80, 0x80                                       // 0000000095B0: B7500080
	s_cmp_lt_i32 s80, s81                                      // 0000000095B4: BF045150
	s_cbranch_scc0 label_1FAF                                  // 0000000095B8: BF8404BD
	s_waitcnt vmcnt(16) lgkmcnt(0)                             // 0000000095BC: BF8C4070
	v_mfma_f32_16x16x32_fp8_fp8 v[68:71], a[112:113], a[0:1], v[68:71]// 0000000095C0: D3F30044 1D120170
	buffer_load_dwordx4 a[96:99], v66, s[24:27], 0 offen       // 0000000095C8: E05C1000 80866042
	v_mfma_f32_16x16x32_fp8_fp8 v[68:71], a[114:115], a[2:3], v[68:71]// 0000000095D0: D3F30044 1D120572
	v_mfma_f32_16x16x32_fp8_fp8 v[68:71], a[116:117], a[4:5], v[68:71]// 0000000095D8: D3F30044 1D120974
	v_mfma_f32_16x16x32_fp8_fp8 v[68:71], a[118:119], a[6:7], v[68:71]// 0000000095E0: D3F30044 1D120D76
	v_mfma_f32_16x16x32_fp8_fp8 v[92:95], a[120:121], a[0:1], v[92:95]// 0000000095E8: D3F3005C 1D720178
	buffer_load_dwordx4 a[100:103], v66, s[24:27], 0 offen offset:1024// 0000000095F0: E05C1400 80866442
	v_mfma_f32_16x16x32_fp8_fp8 v[92:95], a[122:123], a[2:3], v[92:95]// 0000000095F8: D3F3005C 1D72057A
	v_mfma_f32_16x16x32_fp8_fp8 v[92:95], a[124:125], a[4:5], v[92:95]// 000000009600: D3F3005C 1D72097C
	v_mfma_f32_16x16x32_fp8_fp8 v[92:95], a[126:127], a[6:7], v[92:95]// 000000009608: D3F3005C 1D720D7E
	v_mfma_f32_16x16x32_fp8_fp8 v[72:75], a[112:113], a[8:9], v[72:75]// 000000009610: D3F30048 1D221170
	buffer_load_dwordx4 a[104:107], v67, s[24:27], 0 offen     // 000000009618: E05C1000 80866843
	v_mfma_f32_16x16x32_fp8_fp8 v[72:75], a[114:115], a[10:11], v[72:75]// 000000009620: D3F30048 1D221572
	v_mfma_f32_16x16x32_fp8_fp8 v[72:75], a[116:117], a[12:13], v[72:75]// 000000009628: D3F30048 1D221974
	v_mfma_f32_16x16x32_fp8_fp8 v[72:75], a[118:119], a[14:15], v[72:75]// 000000009630: D3F30048 1D221D76
	v_mfma_f32_16x16x32_fp8_fp8 v[96:99], a[120:121], a[8:9], v[96:99]// 000000009638: D3F30060 1D821178
	buffer_load_dwordx4 a[108:111], v67, s[24:27], 0 offen offset:1024// 000000009640: E05C1400 80866C43
	buffer_load_dword v54, s[20:23], 0 offen lds               // 000000009648: E0511000 80050036
	s_add_u32 m0, 0x100, s49                                   // 000000009650: 807C31FF 00000100
	v_mfma_f32_16x16x32_fp8_fp8 v[96:99], a[122:123], a[10:11], v[96:99]// 000000009658: D3F30060 1D82157A
	v_mfma_f32_16x16x32_fp8_fp8 v[96:99], a[124:125], a[12:13], v[96:99]// 000000009660: D3F30060 1D82197C
	buffer_load_dword v55, s[20:23], 0 offen lds               // 000000009668: E0511000 80050037
	s_add_u32 m0, 0x200, s49                                   // 000000009670: 807C31FF 00000200
	v_mfma_f32_16x16x32_fp8_fp8 v[96:99], a[126:127], a[14:15], v[96:99]// 000000009678: D3F30060 1D821D7E
	v_mfma_f32_16x16x32_fp8_fp8 v[76:79], a[112:113], a[16:17], v[76:79]// 000000009680: D3F3004C 1D322170
	buffer_load_dword v56, s[20:23], 0 offen lds               // 000000009688: E0511000 80050038
	s_add_u32 m0, 0x300, s49                                   // 000000009690: 807C31FF 00000300
	v_mfma_f32_16x16x32_fp8_fp8 v[76:79], a[114:115], a[18:19], v[76:79]// 000000009698: D3F3004C 1D322572
	v_mfma_f32_16x16x32_fp8_fp8 v[76:79], a[116:117], a[20:21], v[76:79]// 0000000096A0: D3F3004C 1D322974
	buffer_load_dword v57, s[20:23], 0 offen lds               // 0000000096A8: E0511000 80050039
	s_add_u32 m0, 0x400, s49                                   // 0000000096B0: 807C31FF 00000400
	v_mfma_f32_16x16x32_fp8_fp8 v[76:79], a[118:119], a[22:23], v[76:79]// 0000000096B8: D3F3004C 1D322D76
	v_mfma_f32_16x16x32_fp8_fp8 v[100:103], a[120:121], a[16:17], v[100:103]// 0000000096C0: D3F30064 1D922178
	buffer_load_dword v58, s[20:23], 0 offen lds               // 0000000096C8: E0511000 8005003A
	s_add_u32 m0, 0x500, s49                                   // 0000000096D0: 807C31FF 00000500
	v_mfma_f32_16x16x32_fp8_fp8 v[100:103], a[122:123], a[18:19], v[100:103]// 0000000096D8: D3F30064 1D92257A
	v_mfma_f32_16x16x32_fp8_fp8 v[100:103], a[124:125], a[20:21], v[100:103]// 0000000096E0: D3F30064 1D92297C
	buffer_load_dword v59, s[20:23], 0 offen lds               // 0000000096E8: E0511000 8005003B
	s_add_u32 m0, 0x600, s49                                   // 0000000096F0: 807C31FF 00000600
	v_mfma_f32_16x16x32_fp8_fp8 v[100:103], a[126:127], a[22:23], v[100:103]// 0000000096F8: D3F30064 1D922D7E
	v_mfma_f32_16x16x32_fp8_fp8 v[80:83], a[112:113], a[24:25], v[80:83]// 000000009700: D3F30050 1D423170
	buffer_load_dword v60, s[20:23], 0 offen lds               // 000000009708: E0511000 8005003C
	s_add_u32 m0, 0x700, s49                                   // 000000009710: 807C31FF 00000700
	v_mfma_f32_16x16x32_fp8_fp8 v[80:83], a[114:115], a[26:27], v[80:83]// 000000009718: D3F30050 1D423572
	v_mfma_f32_16x16x32_fp8_fp8 v[80:83], a[116:117], a[28:29], v[80:83]// 000000009720: D3F30050 1D423974
	buffer_load_dword v61, s[20:23], 0 offen lds               // 000000009728: E0511000 8005003D
	s_add_u32 m0, 0x800, s49                                   // 000000009730: 807C31FF 00000800
	v_mfma_f32_16x16x32_fp8_fp8 v[80:83], a[118:119], a[30:31], v[80:83]// 000000009738: D3F30050 1D423D76
	v_mfma_f32_16x16x32_fp8_fp8 v[104:107], a[120:121], a[24:25], v[104:107]// 000000009740: D3F30068 1DA23178
	buffer_load_dword v62, s[20:23], 0 offen lds               // 000000009748: E0511000 8005003E
	s_add_u32 m0, 0x900, s49                                   // 000000009750: 807C31FF 00000900
	v_mfma_f32_16x16x32_fp8_fp8 v[104:107], a[122:123], a[26:27], v[104:107]// 000000009758: D3F30068 1DA2357A
	v_mfma_f32_16x16x32_fp8_fp8 v[104:107], a[124:125], a[28:29], v[104:107]// 000000009760: D3F30068 1DA2397C
	buffer_load_dword v63, s[20:23], 0 offen lds               // 000000009768: E0511000 8005003F
	s_add_u32 m0, 0xa00, s49                                   // 000000009770: 807C31FF 00000A00
	v_mfma_f32_16x16x32_fp8_fp8 v[104:107], a[126:127], a[30:31], v[104:107]// 000000009778: D3F30068 1DA23D7E
	v_mfma_f32_16x16x32_fp8_fp8 v[84:87], a[112:113], a[32:33], v[84:87]// 000000009780: D3F30054 1D524170
	buffer_load_dword v64, s[20:23], 0 offen lds               // 000000009788: E0511000 80050040
	s_add_u32 m0, 0xb00, s49                                   // 000000009790: 807C31FF 00000B00
	v_mfma_f32_16x16x32_fp8_fp8 v[84:87], a[114:115], a[34:35], v[84:87]// 000000009798: D3F30054 1D524572
	v_mfma_f32_16x16x32_fp8_fp8 v[84:87], a[116:117], a[36:37], v[84:87]// 0000000097A0: D3F30054 1D524974
	buffer_load_dword v65, s[20:23], 0 offen lds               // 0000000097A8: E0511000 80050041
	s_add_u32 m0, 0, s50                                       // 0000000097B0: 807C3280
	v_mfma_f32_16x16x32_fp8_fp8 v[84:87], a[118:119], a[38:39], v[84:87]// 0000000097B4: D3F30054 1D524D76
	v_mfma_f32_16x16x32_fp8_fp8 v[108:111], a[120:121], a[32:33], v[108:111]// 0000000097BC: D3F3006C 1DB24178
	v_mfma_f32_16x16x32_fp8_fp8 v[108:111], a[122:123], a[34:35], v[108:111]// 0000000097C4: D3F3006C 1DB2457A
	v_mfma_f32_16x16x32_fp8_fp8 v[108:111], a[124:125], a[36:37], v[108:111]// 0000000097CC: D3F3006C 1DB2497C
	v_mfma_f32_16x16x32_fp8_fp8 v[108:111], a[126:127], a[38:39], v[108:111]// 0000000097D4: D3F3006C 1DB24D7E
	v_mfma_f32_16x16x32_fp8_fp8 v[88:91], a[112:113], a[40:41], v[88:91]// 0000000097DC: D3F30058 1D625170
	v_mfma_f32_16x16x32_fp8_fp8 v[88:91], a[114:115], a[42:43], v[88:91]// 0000000097E4: D3F30058 1D625572
	v_mfma_f32_16x16x32_fp8_fp8 v[88:91], a[116:117], a[44:45], v[88:91]// 0000000097EC: D3F30058 1D625974
	v_mfma_f32_16x16x32_fp8_fp8 v[88:91], a[118:119], a[46:47], v[88:91]// 0000000097F4: D3F30058 1D625D76
	v_mfma_f32_16x16x32_fp8_fp8 v[112:115], a[120:121], a[40:41], v[112:115]// 0000000097FC: D3F30070 1DC25178
	v_mfma_f32_16x16x32_fp8_fp8 v[112:115], a[122:123], a[42:43], v[112:115]// 000000009804: D3F30070 1DC2557A
	v_mfma_f32_16x16x32_fp8_fp8 v[112:115], a[124:125], a[44:45], v[112:115]// 00000000980C: D3F30070 1DC2597C
	v_mfma_f32_16x16x32_fp8_fp8 v[112:115], a[126:127], a[46:47], v[112:115]// 000000009814: D3F30070 1DC25D7E
	s_waitcnt vmcnt(16)                                        // 00000000981C: BF8C4F70
	s_barrier                                                  // 000000009820: BF8A0000
	v_mfma_f32_16x16x32_fp8_fp8 v[116:119], a[128:129], a[0:1], v[116:119]// 000000009824: D3F30074 1DD20180
	buffer_load_dwordx4 a[112:115], v66, s[84:87], 0 offen     // 00000000982C: E05C1000 80957042
	v_mfma_f32_16x16x32_fp8_fp8 v[116:119], a[130:131], a[2:3], v[116:119]// 000000009834: D3F30074 1DD20582
	v_mfma_f32_16x16x32_fp8_fp8 v[116:119], a[132:133], a[4:5], v[116:119]// 00000000983C: D3F30074 1DD20984
	ds_read_b128 a[48:51], v2                                  // 000000009844: DBFE0000 30000002
	ds_read_b128 a[52:55], v2 offset:64                        // 00000000984C: DBFE0040 34000002
	v_mfma_f32_16x16x32_fp8_fp8 v[116:119], a[134:135], a[6:7], v[116:119]// 000000009854: D3F30074 1DD20D86
	v_mfma_f32_16x16x32_fp8_fp8 v[140:143], a[136:137], a[0:1], v[140:143]// 00000000985C: D3F3008C 1E320188
	buffer_load_dwordx4 a[116:119], v66, s[84:87], 0 offen offset:1024// 000000009864: E05C1400 80957442
	v_mfma_f32_16x16x32_fp8_fp8 v[140:143], a[138:139], a[2:3], v[140:143]// 00000000986C: D3F3008C 1E32058A
	v_mfma_f32_16x16x32_fp8_fp8 v[140:143], a[140:141], a[4:5], v[140:143]// 000000009874: D3F3008C 1E32098C
	ds_read_b128 a[56:59], v2 offset:512                       // 00000000987C: DBFE0200 38000002
	ds_read_b128 a[60:63], v2 offset:576                       // 000000009884: DBFE0240 3C000002
	v_mfma_f32_16x16x32_fp8_fp8 v[140:143], a[142:143], a[6:7], v[140:143]// 00000000988C: D3F3008C 1E320D8E
	v_mfma_f32_16x16x32_fp8_fp8 v[120:123], a[128:129], a[8:9], v[120:123]// 000000009894: D3F30078 1DE21180
	buffer_load_dwordx4 a[120:123], v67, s[84:87], 0 offen     // 00000000989C: E05C1000 80957843
	v_mfma_f32_16x16x32_fp8_fp8 v[120:123], a[130:131], a[10:11], v[120:123]// 0000000098A4: D3F30078 1DE21582
	v_mfma_f32_16x16x32_fp8_fp8 v[120:123], a[132:133], a[12:13], v[120:123]// 0000000098AC: D3F30078 1DE21984
	ds_read_b128 a[64:67], v2 offset:1024                      // 0000000098B4: DBFE0400 40000002
	ds_read_b128 a[68:71], v2 offset:1088                      // 0000000098BC: DBFE0440 44000002
	v_mfma_f32_16x16x32_fp8_fp8 v[120:123], a[134:135], a[14:15], v[120:123]// 0000000098C4: D3F30078 1DE21D86
	v_mfma_f32_16x16x32_fp8_fp8 v[144:147], a[136:137], a[8:9], v[144:147]// 0000000098CC: D3F30090 1E421188
	buffer_load_dwordx4 a[124:127], v67, s[84:87], 0 offen offset:1024// 0000000098D4: E05C1400 80957C43
	v_mfma_f32_16x16x32_fp8_fp8 v[144:147], a[138:139], a[10:11], v[144:147]// 0000000098DC: D3F30090 1E42158A
	v_mfma_f32_16x16x32_fp8_fp8 v[144:147], a[140:141], a[12:13], v[144:147]// 0000000098E4: D3F30090 1E42198C
	ds_read_b128 a[72:75], v2 offset:1536                      // 0000000098EC: DBFE0600 48000002
	ds_read_b128 a[76:79], v2 offset:1600                      // 0000000098F4: DBFE0640 4C000002
	v_mfma_f32_16x16x32_fp8_fp8 v[144:147], a[142:143], a[14:15], v[144:147]// 0000000098FC: D3F30090 1E421D8E
	v_mfma_f32_16x16x32_fp8_fp8 v[124:127], a[128:129], a[16:17], v[124:127]// 000000009904: D3F3007C 1DF22180
	v_mfma_f32_16x16x32_fp8_fp8 v[124:127], a[130:131], a[18:19], v[124:127]// 00000000990C: D3F3007C 1DF22582
	v_mfma_f32_16x16x32_fp8_fp8 v[124:127], a[132:133], a[20:21], v[124:127]// 000000009914: D3F3007C 1DF22984
	ds_read_b128 a[80:83], v2 offset:2048                      // 00000000991C: DBFE0800 50000002
	ds_read_b128 a[84:87], v2 offset:2112                      // 000000009924: DBFE0840 54000002
	v_mfma_f32_16x16x32_fp8_fp8 v[124:127], a[134:135], a[22:23], v[124:127]// 00000000992C: D3F3007C 1DF22D86
	v_mfma_f32_16x16x32_fp8_fp8 v[148:151], a[136:137], a[16:17], v[148:151]// 000000009934: D3F30094 1E522188
	v_mfma_f32_16x16x32_fp8_fp8 v[148:151], a[138:139], a[18:19], v[148:151]// 00000000993C: D3F30094 1E52258A
	v_mfma_f32_16x16x32_fp8_fp8 v[148:151], a[140:141], a[20:21], v[148:151]// 000000009944: D3F30094 1E52298C
	ds_read_b128 a[88:91], v2 offset:2560                      // 00000000994C: DBFE0A00 58000002
	ds_read_b128 a[92:95], v2 offset:2624                      // 000000009954: DBFE0A40 5C000002
	v_mfma_f32_16x16x32_fp8_fp8 v[148:151], a[142:143], a[22:23], v[148:151]// 00000000995C: D3F30094 1E522D8E
	v_mfma_f32_16x16x32_fp8_fp8 v[128:131], a[128:129], a[24:25], v[128:131]// 000000009964: D3F30080 1E023180
	v_mfma_f32_16x16x32_fp8_fp8 v[128:131], a[130:131], a[26:27], v[128:131]// 00000000996C: D3F30080 1E023582
	v_mfma_f32_16x16x32_fp8_fp8 v[128:131], a[132:133], a[28:29], v[128:131]// 000000009974: D3F30080 1E023984
	v_mfma_f32_16x16x32_fp8_fp8 v[128:131], a[134:135], a[30:31], v[128:131]// 00000000997C: D3F30080 1E023D86
	v_mfma_f32_16x16x32_fp8_fp8 v[152:155], a[136:137], a[24:25], v[152:155]// 000000009984: D3F30098 1E623188
	v_mfma_f32_16x16x32_fp8_fp8 v[152:155], a[138:139], a[26:27], v[152:155]// 00000000998C: D3F30098 1E62358A
	v_mfma_f32_16x16x32_fp8_fp8 v[152:155], a[140:141], a[28:29], v[152:155]// 000000009994: D3F30098 1E62398C
	v_mfma_f32_16x16x32_fp8_fp8 v[152:155], a[142:143], a[30:31], v[152:155]// 00000000999C: D3F30098 1E623D8E
	v_mfma_f32_16x16x32_fp8_fp8 v[132:135], a[128:129], a[32:33], v[132:135]// 0000000099A4: D3F30084 1E124180
	v_mfma_f32_16x16x32_fp8_fp8 v[132:135], a[130:131], a[34:35], v[132:135]// 0000000099AC: D3F30084 1E124582
	v_mfma_f32_16x16x32_fp8_fp8 v[132:135], a[132:133], a[36:37], v[132:135]// 0000000099B4: D3F30084 1E124984
	v_mfma_f32_16x16x32_fp8_fp8 v[132:135], a[134:135], a[38:39], v[132:135]// 0000000099BC: D3F30084 1E124D86
	v_mfma_f32_16x16x32_fp8_fp8 v[156:159], a[136:137], a[32:33], v[156:159]// 0000000099C4: D3F3009C 1E724188
	v_mfma_f32_16x16x32_fp8_fp8 v[156:159], a[138:139], a[34:35], v[156:159]// 0000000099CC: D3F3009C 1E72458A
	v_mfma_f32_16x16x32_fp8_fp8 v[156:159], a[140:141], a[36:37], v[156:159]// 0000000099D4: D3F3009C 1E72498C
	v_mfma_f32_16x16x32_fp8_fp8 v[156:159], a[142:143], a[38:39], v[156:159]// 0000000099DC: D3F3009C 1E724D8E
	v_mfma_f32_16x16x32_fp8_fp8 v[136:139], a[128:129], a[40:41], v[136:139]// 0000000099E4: D3F30088 1E225180
	s_add_u32 s60, 0x180, s80                                  // 0000000099EC: 803C50FF 00000180
	s_cmp_lt_u32 s60, s81                                      // 0000000099F4: BF0A513C
	s_cselect_b32 s57, s57, 0                                  // 0000000099F8: 85398039
	v_mfma_f32_16x16x32_fp8_fp8 v[136:139], a[130:131], a[42:43], v[136:139]// 0000000099FC: D3F30088 1E225582
	s_add_u32 s60, 0x100, s80                                  // 000000009A04: 803C50FF 00000100
	s_cmp_lt_u32 s60, s81                                      // 000000009A0C: BF0A513C
	s_cselect_b32 s58, s58, 0                                  // 000000009A10: 853A803A
	v_mfma_f32_16x16x32_fp8_fp8 v[136:139], a[132:133], a[44:45], v[136:139]// 000000009A14: D3F30088 1E225984
	s_add_u32 s60, 0x100, s80                                  // 000000009A1C: 803C50FF 00000100
	s_cmp_lt_u32 s60, s81                                      // 000000009A24: BF0A513C
	s_cselect_b32 s83, s83, 0                                  // 000000009A28: 85538053
	v_mfma_f32_16x16x32_fp8_fp8 v[136:139], a[134:135], a[46:47], v[136:139]// 000000009A2C: D3F30088 1E225D86
	s_add_u32 s24, s58, s24                                    // 000000009A34: 8018183A
	s_addc_u32 s25, 0, s25                                     // 000000009A38: 82191980
	v_mfma_f32_16x16x32_fp8_fp8 v[160:163], a[136:137], a[40:41], v[160:163]// 000000009A3C: D3F300A0 1E825188
	s_add_u32 s20, s57, s20                                    // 000000009A44: 80141439
	s_addc_u32 s21, 0, s21                                     // 000000009A48: 82151580
	v_mfma_f32_16x16x32_fp8_fp8 v[160:163], a[138:139], a[42:43], v[160:163]// 000000009A4C: D3F300A0 1E82558A
	s_add_u32 s84, s83, s84                                    // 000000009A54: 80545453
	s_addc_u32 s85, 0, s85                                     // 000000009A58: 82555580
	v_mfma_f32_16x16x32_fp8_fp8 v[160:163], a[140:141], a[44:45], v[160:163]// 000000009A5C: D3F300A0 1E82598C
	v_mfma_f32_16x16x32_fp8_fp8 v[160:163], a[142:143], a[46:47], v[160:163]// 000000009A64: D3F300A0 1E825D8E
	s_addk_i32 s80, 0x80                                       // 000000009A6C: B7500080
	s_cmp_lt_i32 s80, s81                                      // 000000009A70: BF045150
	s_cbranch_scc0 label_1FAF                                  // 000000009A74: BF84038E
	s_waitcnt vmcnt(16) lgkmcnt(0)                             // 000000009A78: BF8C4070
	v_mfma_f32_16x16x32_fp8_fp8 v[68:71], a[96:97], a[48:49], v[68:71]// 000000009A7C: D3F30044 1D126160
	buffer_load_dwordx4 a[128:131], v66, s[24:27], 0 offen     // 000000009A84: E05C1000 80868042
	v_mfma_f32_16x16x32_fp8_fp8 v[68:71], a[98:99], a[50:51], v[68:71]// 000000009A8C: D3F30044 1D126562
	v_mfma_f32_16x16x32_fp8_fp8 v[68:71], a[100:101], a[52:53], v[68:71]// 000000009A94: D3F30044 1D126964
	v_mfma_f32_16x16x32_fp8_fp8 v[68:71], a[102:103], a[54:55], v[68:71]// 000000009A9C: D3F30044 1D126D66
	v_mfma_f32_16x16x32_fp8_fp8 v[92:95], a[104:105], a[48:49], v[92:95]// 000000009AA4: D3F3005C 1D726168
	buffer_load_dwordx4 a[132:135], v66, s[24:27], 0 offen offset:1024// 000000009AAC: E05C1400 80868442
	v_mfma_f32_16x16x32_fp8_fp8 v[92:95], a[106:107], a[50:51], v[92:95]// 000000009AB4: D3F3005C 1D72656A
	v_mfma_f32_16x16x32_fp8_fp8 v[92:95], a[108:109], a[52:53], v[92:95]// 000000009ABC: D3F3005C 1D72696C
	v_mfma_f32_16x16x32_fp8_fp8 v[92:95], a[110:111], a[54:55], v[92:95]// 000000009AC4: D3F3005C 1D726D6E
	v_mfma_f32_16x16x32_fp8_fp8 v[72:75], a[96:97], a[56:57], v[72:75]// 000000009ACC: D3F30048 1D227160
	buffer_load_dwordx4 a[136:139], v67, s[24:27], 0 offen     // 000000009AD4: E05C1000 80868843
	v_mfma_f32_16x16x32_fp8_fp8 v[72:75], a[98:99], a[58:59], v[72:75]// 000000009ADC: D3F30048 1D227562
	v_mfma_f32_16x16x32_fp8_fp8 v[72:75], a[100:101], a[60:61], v[72:75]// 000000009AE4: D3F30048 1D227964
	v_mfma_f32_16x16x32_fp8_fp8 v[72:75], a[102:103], a[62:63], v[72:75]// 000000009AEC: D3F30048 1D227D66
	v_mfma_f32_16x16x32_fp8_fp8 v[96:99], a[104:105], a[56:57], v[96:99]// 000000009AF4: D3F30060 1D827168
	buffer_load_dwordx4 a[140:143], v67, s[24:27], 0 offen offset:1024// 000000009AFC: E05C1400 80868C43
	buffer_load_dword v54, s[20:23], 0 offen lds               // 000000009B04: E0511000 80050036
	s_add_u32 m0, 0x100, s50                                   // 000000009B0C: 807C32FF 00000100
	v_mfma_f32_16x16x32_fp8_fp8 v[96:99], a[106:107], a[58:59], v[96:99]// 000000009B14: D3F30060 1D82756A
	v_mfma_f32_16x16x32_fp8_fp8 v[96:99], a[108:109], a[60:61], v[96:99]// 000000009B1C: D3F30060 1D82796C
	buffer_load_dword v55, s[20:23], 0 offen lds               // 000000009B24: E0511000 80050037
	s_add_u32 m0, 0x200, s50                                   // 000000009B2C: 807C32FF 00000200
	v_mfma_f32_16x16x32_fp8_fp8 v[96:99], a[110:111], a[62:63], v[96:99]// 000000009B34: D3F30060 1D827D6E
	v_mfma_f32_16x16x32_fp8_fp8 v[76:79], a[96:97], a[64:65], v[76:79]// 000000009B3C: D3F3004C 1D328160
	buffer_load_dword v56, s[20:23], 0 offen lds               // 000000009B44: E0511000 80050038
	s_add_u32 m0, 0x300, s50                                   // 000000009B4C: 807C32FF 00000300
	v_mfma_f32_16x16x32_fp8_fp8 v[76:79], a[98:99], a[66:67], v[76:79]// 000000009B54: D3F3004C 1D328562
	v_mfma_f32_16x16x32_fp8_fp8 v[76:79], a[100:101], a[68:69], v[76:79]// 000000009B5C: D3F3004C 1D328964
	buffer_load_dword v57, s[20:23], 0 offen lds               // 000000009B64: E0511000 80050039
	s_add_u32 m0, 0x400, s50                                   // 000000009B6C: 807C32FF 00000400
	v_mfma_f32_16x16x32_fp8_fp8 v[76:79], a[102:103], a[70:71], v[76:79]// 000000009B74: D3F3004C 1D328D66
	v_mfma_f32_16x16x32_fp8_fp8 v[100:103], a[104:105], a[64:65], v[100:103]// 000000009B7C: D3F30064 1D928168
	buffer_load_dword v58, s[20:23], 0 offen lds               // 000000009B84: E0511000 8005003A
	s_add_u32 m0, 0x500, s50                                   // 000000009B8C: 807C32FF 00000500
	v_mfma_f32_16x16x32_fp8_fp8 v[100:103], a[106:107], a[66:67], v[100:103]// 000000009B94: D3F30064 1D92856A
	v_mfma_f32_16x16x32_fp8_fp8 v[100:103], a[108:109], a[68:69], v[100:103]// 000000009B9C: D3F30064 1D92896C
	buffer_load_dword v59, s[20:23], 0 offen lds               // 000000009BA4: E0511000 8005003B
	s_add_u32 m0, 0x600, s50                                   // 000000009BAC: 807C32FF 00000600
	v_mfma_f32_16x16x32_fp8_fp8 v[100:103], a[110:111], a[70:71], v[100:103]// 000000009BB4: D3F30064 1D928D6E
	v_mfma_f32_16x16x32_fp8_fp8 v[80:83], a[96:97], a[72:73], v[80:83]// 000000009BBC: D3F30050 1D429160
	buffer_load_dword v60, s[20:23], 0 offen lds               // 000000009BC4: E0511000 8005003C
	s_add_u32 m0, 0x700, s50                                   // 000000009BCC: 807C32FF 00000700
	v_mfma_f32_16x16x32_fp8_fp8 v[80:83], a[98:99], a[74:75], v[80:83]// 000000009BD4: D3F30050 1D429562
	v_mfma_f32_16x16x32_fp8_fp8 v[80:83], a[100:101], a[76:77], v[80:83]// 000000009BDC: D3F30050 1D429964
	buffer_load_dword v61, s[20:23], 0 offen lds               // 000000009BE4: E0511000 8005003D
	s_add_u32 m0, 0x800, s50                                   // 000000009BEC: 807C32FF 00000800
	v_mfma_f32_16x16x32_fp8_fp8 v[80:83], a[102:103], a[78:79], v[80:83]// 000000009BF4: D3F30050 1D429D66
	v_mfma_f32_16x16x32_fp8_fp8 v[104:107], a[104:105], a[72:73], v[104:107]// 000000009BFC: D3F30068 1DA29168
	buffer_load_dword v62, s[20:23], 0 offen lds               // 000000009C04: E0511000 8005003E
	s_add_u32 m0, 0x900, s50                                   // 000000009C0C: 807C32FF 00000900
	v_mfma_f32_16x16x32_fp8_fp8 v[104:107], a[106:107], a[74:75], v[104:107]// 000000009C14: D3F30068 1DA2956A
	v_mfma_f32_16x16x32_fp8_fp8 v[104:107], a[108:109], a[76:77], v[104:107]// 000000009C1C: D3F30068 1DA2996C
	buffer_load_dword v63, s[20:23], 0 offen lds               // 000000009C24: E0511000 8005003F
	s_add_u32 m0, 0xa00, s50                                   // 000000009C2C: 807C32FF 00000A00
	v_mfma_f32_16x16x32_fp8_fp8 v[104:107], a[110:111], a[78:79], v[104:107]// 000000009C34: D3F30068 1DA29D6E
	v_mfma_f32_16x16x32_fp8_fp8 v[84:87], a[96:97], a[80:81], v[84:87]// 000000009C3C: D3F30054 1D52A160
	buffer_load_dword v64, s[20:23], 0 offen lds               // 000000009C44: E0511000 80050040
	s_add_u32 m0, 0xb00, s50                                   // 000000009C4C: 807C32FF 00000B00
	v_mfma_f32_16x16x32_fp8_fp8 v[84:87], a[98:99], a[82:83], v[84:87]// 000000009C54: D3F30054 1D52A562
	v_mfma_f32_16x16x32_fp8_fp8 v[84:87], a[100:101], a[84:85], v[84:87]// 000000009C5C: D3F30054 1D52A964
	buffer_load_dword v65, s[20:23], 0 offen lds               // 000000009C64: E0511000 80050041
	s_add_u32 m0, 0, s48                                       // 000000009C6C: 807C3080
	v_mfma_f32_16x16x32_fp8_fp8 v[84:87], a[102:103], a[86:87], v[84:87]// 000000009C70: D3F30054 1D52AD66
	v_mfma_f32_16x16x32_fp8_fp8 v[108:111], a[104:105], a[80:81], v[108:111]// 000000009C78: D3F3006C 1DB2A168
	v_mfma_f32_16x16x32_fp8_fp8 v[108:111], a[106:107], a[82:83], v[108:111]// 000000009C80: D3F3006C 1DB2A56A
	v_mfma_f32_16x16x32_fp8_fp8 v[108:111], a[108:109], a[84:85], v[108:111]// 000000009C88: D3F3006C 1DB2A96C
	v_mfma_f32_16x16x32_fp8_fp8 v[108:111], a[110:111], a[86:87], v[108:111]// 000000009C90: D3F3006C 1DB2AD6E
	v_mfma_f32_16x16x32_fp8_fp8 v[88:91], a[96:97], a[88:89], v[88:91]// 000000009C98: D3F30058 1D62B160
	v_mfma_f32_16x16x32_fp8_fp8 v[88:91], a[98:99], a[90:91], v[88:91]// 000000009CA0: D3F30058 1D62B562
	v_mfma_f32_16x16x32_fp8_fp8 v[88:91], a[100:101], a[92:93], v[88:91]// 000000009CA8: D3F30058 1D62B964
	v_mfma_f32_16x16x32_fp8_fp8 v[88:91], a[102:103], a[94:95], v[88:91]// 000000009CB0: D3F30058 1D62BD66
	v_mfma_f32_16x16x32_fp8_fp8 v[112:115], a[104:105], a[88:89], v[112:115]// 000000009CB8: D3F30070 1DC2B168
	v_mfma_f32_16x16x32_fp8_fp8 v[112:115], a[106:107], a[90:91], v[112:115]// 000000009CC0: D3F30070 1DC2B56A
	v_mfma_f32_16x16x32_fp8_fp8 v[112:115], a[108:109], a[92:93], v[112:115]// 000000009CC8: D3F30070 1DC2B96C
	v_mfma_f32_16x16x32_fp8_fp8 v[112:115], a[110:111], a[94:95], v[112:115]// 000000009CD0: D3F30070 1DC2BD6E
	s_waitcnt vmcnt(16)                                        // 000000009CD8: BF8C4F70
	s_barrier                                                  // 000000009CDC: BF8A0000
	v_mfma_f32_16x16x32_fp8_fp8 v[116:119], a[112:113], a[48:49], v[116:119]// 000000009CE0: D3F30074 1DD26170
	buffer_load_dwordx4 a[96:99], v66, s[84:87], 0 offen       // 000000009CE8: E05C1000 80956042
	v_mfma_f32_16x16x32_fp8_fp8 v[116:119], a[114:115], a[50:51], v[116:119]// 000000009CF0: D3F30074 1DD26572
	v_mfma_f32_16x16x32_fp8_fp8 v[116:119], a[116:117], a[52:53], v[116:119]// 000000009CF8: D3F30074 1DD26974
	ds_read_b128 a[0:3], v2 offset:12416                       // 000000009D00: DBFE3080 00000002
	ds_read_b128 a[4:7], v2 offset:12480                       // 000000009D08: DBFE30C0 04000002
	v_mfma_f32_16x16x32_fp8_fp8 v[116:119], a[118:119], a[54:55], v[116:119]// 000000009D10: D3F30074 1DD26D76
	v_mfma_f32_16x16x32_fp8_fp8 v[140:143], a[120:121], a[48:49], v[140:143]// 000000009D18: D3F3008C 1E326178
	buffer_load_dwordx4 a[100:103], v66, s[84:87], 0 offen offset:1024// 000000009D20: E05C1400 80956442
	v_mfma_f32_16x16x32_fp8_fp8 v[140:143], a[122:123], a[50:51], v[140:143]// 000000009D28: D3F3008C 1E32657A
	v_mfma_f32_16x16x32_fp8_fp8 v[140:143], a[124:125], a[52:53], v[140:143]// 000000009D30: D3F3008C 1E32697C
	ds_read_b128 a[8:11], v2 offset:12928                      // 000000009D38: DBFE3280 08000002
	ds_read_b128 a[12:15], v2 offset:12992                     // 000000009D40: DBFE32C0 0C000002
	v_mfma_f32_16x16x32_fp8_fp8 v[140:143], a[126:127], a[54:55], v[140:143]// 000000009D48: D3F3008C 1E326D7E
	v_mfma_f32_16x16x32_fp8_fp8 v[120:123], a[112:113], a[56:57], v[120:123]// 000000009D50: D3F30078 1DE27170
	buffer_load_dwordx4 a[104:107], v67, s[84:87], 0 offen     // 000000009D58: E05C1000 80956843
	v_mfma_f32_16x16x32_fp8_fp8 v[120:123], a[114:115], a[58:59], v[120:123]// 000000009D60: D3F30078 1DE27572
	v_mfma_f32_16x16x32_fp8_fp8 v[120:123], a[116:117], a[60:61], v[120:123]// 000000009D68: D3F30078 1DE27974
	ds_read_b128 a[16:19], v2 offset:13440                     // 000000009D70: DBFE3480 10000002
	ds_read_b128 a[20:23], v2 offset:13504                     // 000000009D78: DBFE34C0 14000002
	v_mfma_f32_16x16x32_fp8_fp8 v[120:123], a[118:119], a[62:63], v[120:123]// 000000009D80: D3F30078 1DE27D76
	v_mfma_f32_16x16x32_fp8_fp8 v[144:147], a[120:121], a[56:57], v[144:147]// 000000009D88: D3F30090 1E427178
	buffer_load_dwordx4 a[108:111], v67, s[84:87], 0 offen offset:1024// 000000009D90: E05C1400 80956C43
	v_mfma_f32_16x16x32_fp8_fp8 v[144:147], a[122:123], a[58:59], v[144:147]// 000000009D98: D3F30090 1E42757A
	v_mfma_f32_16x16x32_fp8_fp8 v[144:147], a[124:125], a[60:61], v[144:147]// 000000009DA0: D3F30090 1E42797C
	ds_read_b128 a[24:27], v2 offset:13952                     // 000000009DA8: DBFE3680 18000002
	ds_read_b128 a[28:31], v2 offset:14016                     // 000000009DB0: DBFE36C0 1C000002
	v_mfma_f32_16x16x32_fp8_fp8 v[144:147], a[126:127], a[62:63], v[144:147]// 000000009DB8: D3F30090 1E427D7E
	v_mfma_f32_16x16x32_fp8_fp8 v[124:127], a[112:113], a[64:65], v[124:127]// 000000009DC0: D3F3007C 1DF28170
	v_mfma_f32_16x16x32_fp8_fp8 v[124:127], a[114:115], a[66:67], v[124:127]// 000000009DC8: D3F3007C 1DF28572
	v_mfma_f32_16x16x32_fp8_fp8 v[124:127], a[116:117], a[68:69], v[124:127]// 000000009DD0: D3F3007C 1DF28974
	ds_read_b128 a[32:35], v2 offset:14464                     // 000000009DD8: DBFE3880 20000002
	ds_read_b128 a[36:39], v2 offset:14528                     // 000000009DE0: DBFE38C0 24000002
	v_mfma_f32_16x16x32_fp8_fp8 v[124:127], a[118:119], a[70:71], v[124:127]// 000000009DE8: D3F3007C 1DF28D76
	v_mfma_f32_16x16x32_fp8_fp8 v[148:151], a[120:121], a[64:65], v[148:151]// 000000009DF0: D3F30094 1E528178
	v_mfma_f32_16x16x32_fp8_fp8 v[148:151], a[122:123], a[66:67], v[148:151]// 000000009DF8: D3F30094 1E52857A
	v_mfma_f32_16x16x32_fp8_fp8 v[148:151], a[124:125], a[68:69], v[148:151]// 000000009E00: D3F30094 1E52897C
	ds_read_b128 a[40:43], v2 offset:14976                     // 000000009E08: DBFE3A80 28000002
	ds_read_b128 a[44:47], v2 offset:15040                     // 000000009E10: DBFE3AC0 2C000002
	v_mfma_f32_16x16x32_fp8_fp8 v[148:151], a[126:127], a[70:71], v[148:151]// 000000009E18: D3F30094 1E528D7E
	v_mfma_f32_16x16x32_fp8_fp8 v[128:131], a[112:113], a[72:73], v[128:131]// 000000009E20: D3F30080 1E029170
	v_mfma_f32_16x16x32_fp8_fp8 v[128:131], a[114:115], a[74:75], v[128:131]// 000000009E28: D3F30080 1E029572
	v_mfma_f32_16x16x32_fp8_fp8 v[128:131], a[116:117], a[76:77], v[128:131]// 000000009E30: D3F30080 1E029974
	v_mfma_f32_16x16x32_fp8_fp8 v[128:131], a[118:119], a[78:79], v[128:131]// 000000009E38: D3F30080 1E029D76
	v_mfma_f32_16x16x32_fp8_fp8 v[152:155], a[120:121], a[72:73], v[152:155]// 000000009E40: D3F30098 1E629178
	v_mfma_f32_16x16x32_fp8_fp8 v[152:155], a[122:123], a[74:75], v[152:155]// 000000009E48: D3F30098 1E62957A
	v_mfma_f32_16x16x32_fp8_fp8 v[152:155], a[124:125], a[76:77], v[152:155]// 000000009E50: D3F30098 1E62997C
	v_mfma_f32_16x16x32_fp8_fp8 v[152:155], a[126:127], a[78:79], v[152:155]// 000000009E58: D3F30098 1E629D7E
	v_mfma_f32_16x16x32_fp8_fp8 v[132:135], a[112:113], a[80:81], v[132:135]// 000000009E60: D3F30084 1E12A170
	v_mfma_f32_16x16x32_fp8_fp8 v[132:135], a[114:115], a[82:83], v[132:135]// 000000009E68: D3F30084 1E12A572
	v_mfma_f32_16x16x32_fp8_fp8 v[132:135], a[116:117], a[84:85], v[132:135]// 000000009E70: D3F30084 1E12A974
	v_mfma_f32_16x16x32_fp8_fp8 v[132:135], a[118:119], a[86:87], v[132:135]// 000000009E78: D3F30084 1E12AD76
	v_mfma_f32_16x16x32_fp8_fp8 v[156:159], a[120:121], a[80:81], v[156:159]// 000000009E80: D3F3009C 1E72A178
	v_mfma_f32_16x16x32_fp8_fp8 v[156:159], a[122:123], a[82:83], v[156:159]// 000000009E88: D3F3009C 1E72A57A
	v_mfma_f32_16x16x32_fp8_fp8 v[156:159], a[124:125], a[84:85], v[156:159]// 000000009E90: D3F3009C 1E72A97C
	v_mfma_f32_16x16x32_fp8_fp8 v[156:159], a[126:127], a[86:87], v[156:159]// 000000009E98: D3F3009C 1E72AD7E
	v_mfma_f32_16x16x32_fp8_fp8 v[136:139], a[112:113], a[88:89], v[136:139]// 000000009EA0: D3F30088 1E22B170
	s_add_u32 s60, 0x180, s80                                  // 000000009EA8: 803C50FF 00000180
	s_cmp_lt_u32 s60, s81                                      // 000000009EB0: BF0A513C
	s_cselect_b32 s57, s57, 0                                  // 000000009EB4: 85398039
	v_mfma_f32_16x16x32_fp8_fp8 v[136:139], a[114:115], a[90:91], v[136:139]// 000000009EB8: D3F30088 1E22B572
	s_add_u32 s60, 0x100, s80                                  // 000000009EC0: 803C50FF 00000100
	s_cmp_lt_u32 s60, s81                                      // 000000009EC8: BF0A513C
	s_cselect_b32 s58, s58, 0                                  // 000000009ECC: 853A803A
	v_mfma_f32_16x16x32_fp8_fp8 v[136:139], a[116:117], a[92:93], v[136:139]// 000000009ED0: D3F30088 1E22B974
	s_add_u32 s60, 0x100, s80                                  // 000000009ED8: 803C50FF 00000100
	s_cmp_lt_u32 s60, s81                                      // 000000009EE0: BF0A513C
	s_cselect_b32 s83, s83, 0                                  // 000000009EE4: 85538053
	v_mfma_f32_16x16x32_fp8_fp8 v[136:139], a[118:119], a[94:95], v[136:139]// 000000009EE8: D3F30088 1E22BD76
	s_add_u32 s24, s58, s24                                    // 000000009EF0: 8018183A
	s_addc_u32 s25, 0, s25                                     // 000000009EF4: 82191980
	v_mfma_f32_16x16x32_fp8_fp8 v[160:163], a[120:121], a[88:89], v[160:163]// 000000009EF8: D3F300A0 1E82B178
	s_add_u32 s20, s57, s20                                    // 000000009F00: 80141439
	s_addc_u32 s21, 0, s21                                     // 000000009F04: 82151580
	v_mfma_f32_16x16x32_fp8_fp8 v[160:163], a[122:123], a[90:91], v[160:163]// 000000009F08: D3F300A0 1E82B57A
	s_add_u32 s84, s83, s84                                    // 000000009F10: 80545453
	s_addc_u32 s85, 0, s85                                     // 000000009F14: 82555580
	v_mfma_f32_16x16x32_fp8_fp8 v[160:163], a[124:125], a[92:93], v[160:163]// 000000009F18: D3F300A0 1E82B97C
	v_mfma_f32_16x16x32_fp8_fp8 v[160:163], a[126:127], a[94:95], v[160:163]// 000000009F20: D3F300A0 1E82BD7E
	s_addk_i32 s80, 0x80                                       // 000000009F28: B7500080
	s_cmp_lt_i32 s80, s81                                      // 000000009F2C: BF045150
	s_cbranch_scc0 label_1FAF                                  // 000000009F30: BF84025F
	s_waitcnt vmcnt(16) lgkmcnt(0)                             // 000000009F34: BF8C4070
	v_mfma_f32_16x16x32_fp8_fp8 v[68:71], a[128:129], a[0:1], v[68:71]// 000000009F38: D3F30044 1D120180
	buffer_load_dwordx4 a[112:115], v66, s[24:27], 0 offen     // 000000009F40: E05C1000 80867042
	v_mfma_f32_16x16x32_fp8_fp8 v[68:71], a[130:131], a[2:3], v[68:71]// 000000009F48: D3F30044 1D120582
	v_mfma_f32_16x16x32_fp8_fp8 v[68:71], a[132:133], a[4:5], v[68:71]// 000000009F50: D3F30044 1D120984
	v_mfma_f32_16x16x32_fp8_fp8 v[68:71], a[134:135], a[6:7], v[68:71]// 000000009F58: D3F30044 1D120D86
	v_mfma_f32_16x16x32_fp8_fp8 v[92:95], a[136:137], a[0:1], v[92:95]// 000000009F60: D3F3005C 1D720188
	buffer_load_dwordx4 a[116:119], v66, s[24:27], 0 offen offset:1024// 000000009F68: E05C1400 80867442
	v_mfma_f32_16x16x32_fp8_fp8 v[92:95], a[138:139], a[2:3], v[92:95]// 000000009F70: D3F3005C 1D72058A
	v_mfma_f32_16x16x32_fp8_fp8 v[92:95], a[140:141], a[4:5], v[92:95]// 000000009F78: D3F3005C 1D72098C
	v_mfma_f32_16x16x32_fp8_fp8 v[92:95], a[142:143], a[6:7], v[92:95]// 000000009F80: D3F3005C 1D720D8E
	v_mfma_f32_16x16x32_fp8_fp8 v[72:75], a[128:129], a[8:9], v[72:75]// 000000009F88: D3F30048 1D221180
	buffer_load_dwordx4 a[120:123], v67, s[24:27], 0 offen     // 000000009F90: E05C1000 80867843
	v_mfma_f32_16x16x32_fp8_fp8 v[72:75], a[130:131], a[10:11], v[72:75]// 000000009F98: D3F30048 1D221582
	v_mfma_f32_16x16x32_fp8_fp8 v[72:75], a[132:133], a[12:13], v[72:75]// 000000009FA0: D3F30048 1D221984
	v_mfma_f32_16x16x32_fp8_fp8 v[72:75], a[134:135], a[14:15], v[72:75]// 000000009FA8: D3F30048 1D221D86
	v_mfma_f32_16x16x32_fp8_fp8 v[96:99], a[136:137], a[8:9], v[96:99]// 000000009FB0: D3F30060 1D821188
	buffer_load_dwordx4 a[124:127], v67, s[24:27], 0 offen offset:1024// 000000009FB8: E05C1400 80867C43
	buffer_load_dword v54, s[20:23], 0 offen lds               // 000000009FC0: E0511000 80050036
	s_add_u32 m0, 0x100, s48                                   // 000000009FC8: 807C30FF 00000100
	v_mfma_f32_16x16x32_fp8_fp8 v[96:99], a[138:139], a[10:11], v[96:99]// 000000009FD0: D3F30060 1D82158A
	v_mfma_f32_16x16x32_fp8_fp8 v[96:99], a[140:141], a[12:13], v[96:99]// 000000009FD8: D3F30060 1D82198C
	buffer_load_dword v55, s[20:23], 0 offen lds               // 000000009FE0: E0511000 80050037
	s_add_u32 m0, 0x200, s48                                   // 000000009FE8: 807C30FF 00000200
	v_mfma_f32_16x16x32_fp8_fp8 v[96:99], a[142:143], a[14:15], v[96:99]// 000000009FF0: D3F30060 1D821D8E
	v_mfma_f32_16x16x32_fp8_fp8 v[76:79], a[128:129], a[16:17], v[76:79]// 000000009FF8: D3F3004C 1D322180
	buffer_load_dword v56, s[20:23], 0 offen lds               // 00000000A000: E0511000 80050038
	s_add_u32 m0, 0x300, s48                                   // 00000000A008: 807C30FF 00000300
	v_mfma_f32_16x16x32_fp8_fp8 v[76:79], a[130:131], a[18:19], v[76:79]// 00000000A010: D3F3004C 1D322582
	v_mfma_f32_16x16x32_fp8_fp8 v[76:79], a[132:133], a[20:21], v[76:79]// 00000000A018: D3F3004C 1D322984
	buffer_load_dword v57, s[20:23], 0 offen lds               // 00000000A020: E0511000 80050039
	s_add_u32 m0, 0x400, s48                                   // 00000000A028: 807C30FF 00000400
	v_mfma_f32_16x16x32_fp8_fp8 v[76:79], a[134:135], a[22:23], v[76:79]// 00000000A030: D3F3004C 1D322D86
	v_mfma_f32_16x16x32_fp8_fp8 v[100:103], a[136:137], a[16:17], v[100:103]// 00000000A038: D3F30064 1D922188
	buffer_load_dword v58, s[20:23], 0 offen lds               // 00000000A040: E0511000 8005003A
	s_add_u32 m0, 0x500, s48                                   // 00000000A048: 807C30FF 00000500
	v_mfma_f32_16x16x32_fp8_fp8 v[100:103], a[138:139], a[18:19], v[100:103]// 00000000A050: D3F30064 1D92258A
	v_mfma_f32_16x16x32_fp8_fp8 v[100:103], a[140:141], a[20:21], v[100:103]// 00000000A058: D3F30064 1D92298C
	buffer_load_dword v59, s[20:23], 0 offen lds               // 00000000A060: E0511000 8005003B
	s_add_u32 m0, 0x600, s48                                   // 00000000A068: 807C30FF 00000600
	v_mfma_f32_16x16x32_fp8_fp8 v[100:103], a[142:143], a[22:23], v[100:103]// 00000000A070: D3F30064 1D922D8E
	v_mfma_f32_16x16x32_fp8_fp8 v[80:83], a[128:129], a[24:25], v[80:83]// 00000000A078: D3F30050 1D423180
	buffer_load_dword v60, s[20:23], 0 offen lds               // 00000000A080: E0511000 8005003C
	s_add_u32 m0, 0x700, s48                                   // 00000000A088: 807C30FF 00000700
	v_mfma_f32_16x16x32_fp8_fp8 v[80:83], a[130:131], a[26:27], v[80:83]// 00000000A090: D3F30050 1D423582
	v_mfma_f32_16x16x32_fp8_fp8 v[80:83], a[132:133], a[28:29], v[80:83]// 00000000A098: D3F30050 1D423984
	buffer_load_dword v61, s[20:23], 0 offen lds               // 00000000A0A0: E0511000 8005003D
	s_add_u32 m0, 0x800, s48                                   // 00000000A0A8: 807C30FF 00000800
	v_mfma_f32_16x16x32_fp8_fp8 v[80:83], a[134:135], a[30:31], v[80:83]// 00000000A0B0: D3F30050 1D423D86
	v_mfma_f32_16x16x32_fp8_fp8 v[104:107], a[136:137], a[24:25], v[104:107]// 00000000A0B8: D3F30068 1DA23188
	buffer_load_dword v62, s[20:23], 0 offen lds               // 00000000A0C0: E0511000 8005003E
	s_add_u32 m0, 0x900, s48                                   // 00000000A0C8: 807C30FF 00000900
	v_mfma_f32_16x16x32_fp8_fp8 v[104:107], a[138:139], a[26:27], v[104:107]// 00000000A0D0: D3F30068 1DA2358A
	v_mfma_f32_16x16x32_fp8_fp8 v[104:107], a[140:141], a[28:29], v[104:107]// 00000000A0D8: D3F30068 1DA2398C
	buffer_load_dword v63, s[20:23], 0 offen lds               // 00000000A0E0: E0511000 8005003F
	s_add_u32 m0, 0xa00, s48                                   // 00000000A0E8: 807C30FF 00000A00
	v_mfma_f32_16x16x32_fp8_fp8 v[104:107], a[142:143], a[30:31], v[104:107]// 00000000A0F0: D3F30068 1DA23D8E
	v_mfma_f32_16x16x32_fp8_fp8 v[84:87], a[128:129], a[32:33], v[84:87]// 00000000A0F8: D3F30054 1D524180
	buffer_load_dword v64, s[20:23], 0 offen lds               // 00000000A100: E0511000 80050040
	s_add_u32 m0, 0xb00, s48                                   // 00000000A108: 807C30FF 00000B00
	v_mfma_f32_16x16x32_fp8_fp8 v[84:87], a[130:131], a[34:35], v[84:87]// 00000000A110: D3F30054 1D524582
	v_mfma_f32_16x16x32_fp8_fp8 v[84:87], a[132:133], a[36:37], v[84:87]// 00000000A118: D3F30054 1D524984
	buffer_load_dword v65, s[20:23], 0 offen lds               // 00000000A120: E0511000 80050041
	s_add_u32 m0, 0, s49                                       // 00000000A128: 807C3180
	v_mfma_f32_16x16x32_fp8_fp8 v[84:87], a[134:135], a[38:39], v[84:87]// 00000000A12C: D3F30054 1D524D86
	v_mfma_f32_16x16x32_fp8_fp8 v[108:111], a[136:137], a[32:33], v[108:111]// 00000000A134: D3F3006C 1DB24188
	v_mfma_f32_16x16x32_fp8_fp8 v[108:111], a[138:139], a[34:35], v[108:111]// 00000000A13C: D3F3006C 1DB2458A
	v_mfma_f32_16x16x32_fp8_fp8 v[108:111], a[140:141], a[36:37], v[108:111]// 00000000A144: D3F3006C 1DB2498C
	v_mfma_f32_16x16x32_fp8_fp8 v[108:111], a[142:143], a[38:39], v[108:111]// 00000000A14C: D3F3006C 1DB24D8E
	v_mfma_f32_16x16x32_fp8_fp8 v[88:91], a[128:129], a[40:41], v[88:91]// 00000000A154: D3F30058 1D625180
	v_mfma_f32_16x16x32_fp8_fp8 v[88:91], a[130:131], a[42:43], v[88:91]// 00000000A15C: D3F30058 1D625582
	v_mfma_f32_16x16x32_fp8_fp8 v[88:91], a[132:133], a[44:45], v[88:91]// 00000000A164: D3F30058 1D625984
	v_mfma_f32_16x16x32_fp8_fp8 v[88:91], a[134:135], a[46:47], v[88:91]// 00000000A16C: D3F30058 1D625D86
	v_mfma_f32_16x16x32_fp8_fp8 v[112:115], a[136:137], a[40:41], v[112:115]// 00000000A174: D3F30070 1DC25188
	v_mfma_f32_16x16x32_fp8_fp8 v[112:115], a[138:139], a[42:43], v[112:115]// 00000000A17C: D3F30070 1DC2558A
	v_mfma_f32_16x16x32_fp8_fp8 v[112:115], a[140:141], a[44:45], v[112:115]// 00000000A184: D3F30070 1DC2598C
	v_mfma_f32_16x16x32_fp8_fp8 v[112:115], a[142:143], a[46:47], v[112:115]// 00000000A18C: D3F30070 1DC25D8E
	s_waitcnt vmcnt(16)                                        // 00000000A194: BF8C4F70
	s_barrier                                                  // 00000000A198: BF8A0000
	v_mfma_f32_16x16x32_fp8_fp8 v[116:119], a[96:97], a[0:1], v[116:119]// 00000000A19C: D3F30074 1DD20160
	buffer_load_dwordx4 a[128:131], v66, s[84:87], 0 offen     // 00000000A1A4: E05C1000 80958042
	v_mfma_f32_16x16x32_fp8_fp8 v[116:119], a[98:99], a[2:3], v[116:119]// 00000000A1AC: D3F30074 1DD20562
	v_mfma_f32_16x16x32_fp8_fp8 v[116:119], a[100:101], a[4:5], v[116:119]// 00000000A1B4: D3F30074 1DD20964
	ds_read_b128 a[48:51], v2 offset:24832                     // 00000000A1BC: DBFE6100 30000002
	ds_read_b128 a[52:55], v2 offset:24896                     // 00000000A1C4: DBFE6140 34000002
	v_mfma_f32_16x16x32_fp8_fp8 v[116:119], a[102:103], a[6:7], v[116:119]// 00000000A1CC: D3F30074 1DD20D66
	v_mfma_f32_16x16x32_fp8_fp8 v[140:143], a[104:105], a[0:1], v[140:143]// 00000000A1D4: D3F3008C 1E320168
	buffer_load_dwordx4 a[132:135], v66, s[84:87], 0 offen offset:1024// 00000000A1DC: E05C1400 80958442
	v_mfma_f32_16x16x32_fp8_fp8 v[140:143], a[106:107], a[2:3], v[140:143]// 00000000A1E4: D3F3008C 1E32056A
	v_mfma_f32_16x16x32_fp8_fp8 v[140:143], a[108:109], a[4:5], v[140:143]// 00000000A1EC: D3F3008C 1E32096C
	ds_read_b128 a[56:59], v2 offset:25344                     // 00000000A1F4: DBFE6300 38000002
	ds_read_b128 a[60:63], v2 offset:25408                     // 00000000A1FC: DBFE6340 3C000002
	v_mfma_f32_16x16x32_fp8_fp8 v[140:143], a[110:111], a[6:7], v[140:143]// 00000000A204: D3F3008C 1E320D6E
	v_mfma_f32_16x16x32_fp8_fp8 v[120:123], a[96:97], a[8:9], v[120:123]// 00000000A20C: D3F30078 1DE21160
	buffer_load_dwordx4 a[136:139], v67, s[84:87], 0 offen     // 00000000A214: E05C1000 80958843
	v_mfma_f32_16x16x32_fp8_fp8 v[120:123], a[98:99], a[10:11], v[120:123]// 00000000A21C: D3F30078 1DE21562
	v_mfma_f32_16x16x32_fp8_fp8 v[120:123], a[100:101], a[12:13], v[120:123]// 00000000A224: D3F30078 1DE21964
	ds_read_b128 a[64:67], v2 offset:25856                     // 00000000A22C: DBFE6500 40000002
	ds_read_b128 a[68:71], v2 offset:25920                     // 00000000A234: DBFE6540 44000002
	v_mfma_f32_16x16x32_fp8_fp8 v[120:123], a[102:103], a[14:15], v[120:123]// 00000000A23C: D3F30078 1DE21D66
	v_mfma_f32_16x16x32_fp8_fp8 v[144:147], a[104:105], a[8:9], v[144:147]// 00000000A244: D3F30090 1E421168
	buffer_load_dwordx4 a[140:143], v67, s[84:87], 0 offen offset:1024// 00000000A24C: E05C1400 80958C43
	v_mfma_f32_16x16x32_fp8_fp8 v[144:147], a[106:107], a[10:11], v[144:147]// 00000000A254: D3F30090 1E42156A
	v_mfma_f32_16x16x32_fp8_fp8 v[144:147], a[108:109], a[12:13], v[144:147]// 00000000A25C: D3F30090 1E42196C
	ds_read_b128 a[72:75], v2 offset:26368                     // 00000000A264: DBFE6700 48000002
	ds_read_b128 a[76:79], v2 offset:26432                     // 00000000A26C: DBFE6740 4C000002
	v_mfma_f32_16x16x32_fp8_fp8 v[144:147], a[110:111], a[14:15], v[144:147]// 00000000A274: D3F30090 1E421D6E
	v_mfma_f32_16x16x32_fp8_fp8 v[124:127], a[96:97], a[16:17], v[124:127]// 00000000A27C: D3F3007C 1DF22160
	v_mfma_f32_16x16x32_fp8_fp8 v[124:127], a[98:99], a[18:19], v[124:127]// 00000000A284: D3F3007C 1DF22562
	v_mfma_f32_16x16x32_fp8_fp8 v[124:127], a[100:101], a[20:21], v[124:127]// 00000000A28C: D3F3007C 1DF22964
	ds_read_b128 a[80:83], v2 offset:26880                     // 00000000A294: DBFE6900 50000002
	ds_read_b128 a[84:87], v2 offset:26944                     // 00000000A29C: DBFE6940 54000002
	v_mfma_f32_16x16x32_fp8_fp8 v[124:127], a[102:103], a[22:23], v[124:127]// 00000000A2A4: D3F3007C 1DF22D66
	v_mfma_f32_16x16x32_fp8_fp8 v[148:151], a[104:105], a[16:17], v[148:151]// 00000000A2AC: D3F30094 1E522168
	v_mfma_f32_16x16x32_fp8_fp8 v[148:151], a[106:107], a[18:19], v[148:151]// 00000000A2B4: D3F30094 1E52256A
	v_mfma_f32_16x16x32_fp8_fp8 v[148:151], a[108:109], a[20:21], v[148:151]// 00000000A2BC: D3F30094 1E52296C
	ds_read_b128 a[88:91], v2 offset:27392                     // 00000000A2C4: DBFE6B00 58000002
	ds_read_b128 a[92:95], v2 offset:27456                     // 00000000A2CC: DBFE6B40 5C000002
	v_mfma_f32_16x16x32_fp8_fp8 v[148:151], a[110:111], a[22:23], v[148:151]// 00000000A2D4: D3F30094 1E522D6E
	v_mfma_f32_16x16x32_fp8_fp8 v[128:131], a[96:97], a[24:25], v[128:131]// 00000000A2DC: D3F30080 1E023160
	v_mfma_f32_16x16x32_fp8_fp8 v[128:131], a[98:99], a[26:27], v[128:131]// 00000000A2E4: D3F30080 1E023562
	v_mfma_f32_16x16x32_fp8_fp8 v[128:131], a[100:101], a[28:29], v[128:131]// 00000000A2EC: D3F30080 1E023964
	v_mfma_f32_16x16x32_fp8_fp8 v[128:131], a[102:103], a[30:31], v[128:131]// 00000000A2F4: D3F30080 1E023D66
	v_mfma_f32_16x16x32_fp8_fp8 v[152:155], a[104:105], a[24:25], v[152:155]// 00000000A2FC: D3F30098 1E623168
	v_mfma_f32_16x16x32_fp8_fp8 v[152:155], a[106:107], a[26:27], v[152:155]// 00000000A304: D3F30098 1E62356A
	v_mfma_f32_16x16x32_fp8_fp8 v[152:155], a[108:109], a[28:29], v[152:155]// 00000000A30C: D3F30098 1E62396C
	v_mfma_f32_16x16x32_fp8_fp8 v[152:155], a[110:111], a[30:31], v[152:155]// 00000000A314: D3F30098 1E623D6E
	v_mfma_f32_16x16x32_fp8_fp8 v[132:135], a[96:97], a[32:33], v[132:135]// 00000000A31C: D3F30084 1E124160
	v_mfma_f32_16x16x32_fp8_fp8 v[132:135], a[98:99], a[34:35], v[132:135]// 00000000A324: D3F30084 1E124562
	v_mfma_f32_16x16x32_fp8_fp8 v[132:135], a[100:101], a[36:37], v[132:135]// 00000000A32C: D3F30084 1E124964
	v_mfma_f32_16x16x32_fp8_fp8 v[132:135], a[102:103], a[38:39], v[132:135]// 00000000A334: D3F30084 1E124D66
	v_mfma_f32_16x16x32_fp8_fp8 v[156:159], a[104:105], a[32:33], v[156:159]// 00000000A33C: D3F3009C 1E724168
	v_mfma_f32_16x16x32_fp8_fp8 v[156:159], a[106:107], a[34:35], v[156:159]// 00000000A344: D3F3009C 1E72456A
	v_mfma_f32_16x16x32_fp8_fp8 v[156:159], a[108:109], a[36:37], v[156:159]// 00000000A34C: D3F3009C 1E72496C
	v_mfma_f32_16x16x32_fp8_fp8 v[156:159], a[110:111], a[38:39], v[156:159]// 00000000A354: D3F3009C 1E724D6E
	v_mfma_f32_16x16x32_fp8_fp8 v[136:139], a[96:97], a[40:41], v[136:139]// 00000000A35C: D3F30088 1E225160
	s_add_u32 s60, 0x180, s80                                  // 00000000A364: 803C50FF 00000180
	s_cmp_lt_u32 s60, s81                                      // 00000000A36C: BF0A513C
	s_cselect_b32 s57, s57, 0                                  // 00000000A370: 85398039
	v_mfma_f32_16x16x32_fp8_fp8 v[136:139], a[98:99], a[42:43], v[136:139]// 00000000A374: D3F30088 1E225562
	s_add_u32 s60, 0x100, s80                                  // 00000000A37C: 803C50FF 00000100
	s_cmp_lt_u32 s60, s81                                      // 00000000A384: BF0A513C
	s_cselect_b32 s58, s58, 0                                  // 00000000A388: 853A803A
	v_mfma_f32_16x16x32_fp8_fp8 v[136:139], a[100:101], a[44:45], v[136:139]// 00000000A38C: D3F30088 1E225964
	s_add_u32 s60, 0x100, s80                                  // 00000000A394: 803C50FF 00000100
	s_cmp_lt_u32 s60, s81                                      // 00000000A39C: BF0A513C
	s_cselect_b32 s83, s83, 0                                  // 00000000A3A0: 85538053
	v_mfma_f32_16x16x32_fp8_fp8 v[136:139], a[102:103], a[46:47], v[136:139]// 00000000A3A4: D3F30088 1E225D66
	s_add_u32 s24, s58, s24                                    // 00000000A3AC: 8018183A
	s_addc_u32 s25, 0, s25                                     // 00000000A3B0: 82191980
	v_mfma_f32_16x16x32_fp8_fp8 v[160:163], a[104:105], a[40:41], v[160:163]// 00000000A3B4: D3F300A0 1E825168
	s_add_u32 s20, s57, s20                                    // 00000000A3BC: 80141439
	s_addc_u32 s21, 0, s21                                     // 00000000A3C0: 82151580
	v_mfma_f32_16x16x32_fp8_fp8 v[160:163], a[106:107], a[42:43], v[160:163]// 00000000A3C4: D3F300A0 1E82556A
	s_add_u32 s84, s83, s84                                    // 00000000A3CC: 80545453
	s_addc_u32 s85, 0, s85                                     // 00000000A3D0: 82555580
	v_mfma_f32_16x16x32_fp8_fp8 v[160:163], a[108:109], a[44:45], v[160:163]// 00000000A3D4: D3F300A0 1E82596C
	v_mfma_f32_16x16x32_fp8_fp8 v[160:163], a[110:111], a[46:47], v[160:163]// 00000000A3DC: D3F300A0 1E825D6E
	s_addk_i32 s80, 0x80                                       // 00000000A3E4: B7500080
	s_cmp_lt_i32 s80, s81                                      // 00000000A3E8: BF045150
	s_cbranch_scc0 label_1FAF                                  // 00000000A3EC: BF840130
	s_waitcnt vmcnt(16) lgkmcnt(0)                             // 00000000A3F0: BF8C4070
	v_mfma_f32_16x16x32_fp8_fp8 v[68:71], a[112:113], a[48:49], v[68:71]// 00000000A3F4: D3F30044 1D126170
	buffer_load_dwordx4 a[96:99], v66, s[24:27], 0 offen       // 00000000A3FC: E05C1000 80866042
	v_mfma_f32_16x16x32_fp8_fp8 v[68:71], a[114:115], a[50:51], v[68:71]// 00000000A404: D3F30044 1D126572
	v_mfma_f32_16x16x32_fp8_fp8 v[68:71], a[116:117], a[52:53], v[68:71]// 00000000A40C: D3F30044 1D126974
	v_mfma_f32_16x16x32_fp8_fp8 v[68:71], a[118:119], a[54:55], v[68:71]// 00000000A414: D3F30044 1D126D76
	v_mfma_f32_16x16x32_fp8_fp8 v[92:95], a[120:121], a[48:49], v[92:95]// 00000000A41C: D3F3005C 1D726178
	buffer_load_dwordx4 a[100:103], v66, s[24:27], 0 offen offset:1024// 00000000A424: E05C1400 80866442
	v_mfma_f32_16x16x32_fp8_fp8 v[92:95], a[122:123], a[50:51], v[92:95]// 00000000A42C: D3F3005C 1D72657A
	v_mfma_f32_16x16x32_fp8_fp8 v[92:95], a[124:125], a[52:53], v[92:95]// 00000000A434: D3F3005C 1D72697C
	v_mfma_f32_16x16x32_fp8_fp8 v[92:95], a[126:127], a[54:55], v[92:95]// 00000000A43C: D3F3005C 1D726D7E
	v_mfma_f32_16x16x32_fp8_fp8 v[72:75], a[112:113], a[56:57], v[72:75]// 00000000A444: D3F30048 1D227170
	buffer_load_dwordx4 a[104:107], v67, s[24:27], 0 offen     // 00000000A44C: E05C1000 80866843
	v_mfma_f32_16x16x32_fp8_fp8 v[72:75], a[114:115], a[58:59], v[72:75]// 00000000A454: D3F30048 1D227572
	v_mfma_f32_16x16x32_fp8_fp8 v[72:75], a[116:117], a[60:61], v[72:75]// 00000000A45C: D3F30048 1D227974
	v_mfma_f32_16x16x32_fp8_fp8 v[72:75], a[118:119], a[62:63], v[72:75]// 00000000A464: D3F30048 1D227D76
	v_mfma_f32_16x16x32_fp8_fp8 v[96:99], a[120:121], a[56:57], v[96:99]// 00000000A46C: D3F30060 1D827178
	buffer_load_dwordx4 a[108:111], v67, s[24:27], 0 offen offset:1024// 00000000A474: E05C1400 80866C43
	buffer_load_dword v54, s[20:23], 0 offen lds               // 00000000A47C: E0511000 80050036
	s_add_u32 m0, 0x100, s49                                   // 00000000A484: 807C31FF 00000100
	v_mfma_f32_16x16x32_fp8_fp8 v[96:99], a[122:123], a[58:59], v[96:99]// 00000000A48C: D3F30060 1D82757A
	v_mfma_f32_16x16x32_fp8_fp8 v[96:99], a[124:125], a[60:61], v[96:99]// 00000000A494: D3F30060 1D82797C
	buffer_load_dword v55, s[20:23], 0 offen lds               // 00000000A49C: E0511000 80050037
	s_add_u32 m0, 0x200, s49                                   // 00000000A4A4: 807C31FF 00000200
	v_mfma_f32_16x16x32_fp8_fp8 v[96:99], a[126:127], a[62:63], v[96:99]// 00000000A4AC: D3F30060 1D827D7E
	v_mfma_f32_16x16x32_fp8_fp8 v[76:79], a[112:113], a[64:65], v[76:79]// 00000000A4B4: D3F3004C 1D328170
	buffer_load_dword v56, s[20:23], 0 offen lds               // 00000000A4BC: E0511000 80050038
	s_add_u32 m0, 0x300, s49                                   // 00000000A4C4: 807C31FF 00000300
	v_mfma_f32_16x16x32_fp8_fp8 v[76:79], a[114:115], a[66:67], v[76:79]// 00000000A4CC: D3F3004C 1D328572
	v_mfma_f32_16x16x32_fp8_fp8 v[76:79], a[116:117], a[68:69], v[76:79]// 00000000A4D4: D3F3004C 1D328974
	buffer_load_dword v57, s[20:23], 0 offen lds               // 00000000A4DC: E0511000 80050039
	s_add_u32 m0, 0x400, s49                                   // 00000000A4E4: 807C31FF 00000400
	v_mfma_f32_16x16x32_fp8_fp8 v[76:79], a[118:119], a[70:71], v[76:79]// 00000000A4EC: D3F3004C 1D328D76
	v_mfma_f32_16x16x32_fp8_fp8 v[100:103], a[120:121], a[64:65], v[100:103]// 00000000A4F4: D3F30064 1D928178
	buffer_load_dword v58, s[20:23], 0 offen lds               // 00000000A4FC: E0511000 8005003A
	s_add_u32 m0, 0x500, s49                                   // 00000000A504: 807C31FF 00000500
	v_mfma_f32_16x16x32_fp8_fp8 v[100:103], a[122:123], a[66:67], v[100:103]// 00000000A50C: D3F30064 1D92857A
	v_mfma_f32_16x16x32_fp8_fp8 v[100:103], a[124:125], a[68:69], v[100:103]// 00000000A514: D3F30064 1D92897C
	buffer_load_dword v59, s[20:23], 0 offen lds               // 00000000A51C: E0511000 8005003B
	s_add_u32 m0, 0x600, s49                                   // 00000000A524: 807C31FF 00000600
	v_mfma_f32_16x16x32_fp8_fp8 v[100:103], a[126:127], a[70:71], v[100:103]// 00000000A52C: D3F30064 1D928D7E
	v_mfma_f32_16x16x32_fp8_fp8 v[80:83], a[112:113], a[72:73], v[80:83]// 00000000A534: D3F30050 1D429170
	buffer_load_dword v60, s[20:23], 0 offen lds               // 00000000A53C: E0511000 8005003C
	s_add_u32 m0, 0x700, s49                                   // 00000000A544: 807C31FF 00000700
	v_mfma_f32_16x16x32_fp8_fp8 v[80:83], a[114:115], a[74:75], v[80:83]// 00000000A54C: D3F30050 1D429572
	v_mfma_f32_16x16x32_fp8_fp8 v[80:83], a[116:117], a[76:77], v[80:83]// 00000000A554: D3F30050 1D429974
	buffer_load_dword v61, s[20:23], 0 offen lds               // 00000000A55C: E0511000 8005003D
	s_add_u32 m0, 0x800, s49                                   // 00000000A564: 807C31FF 00000800
	v_mfma_f32_16x16x32_fp8_fp8 v[80:83], a[118:119], a[78:79], v[80:83]// 00000000A56C: D3F30050 1D429D76
	v_mfma_f32_16x16x32_fp8_fp8 v[104:107], a[120:121], a[72:73], v[104:107]// 00000000A574: D3F30068 1DA29178
	buffer_load_dword v62, s[20:23], 0 offen lds               // 00000000A57C: E0511000 8005003E
	s_add_u32 m0, 0x900, s49                                   // 00000000A584: 807C31FF 00000900
	v_mfma_f32_16x16x32_fp8_fp8 v[104:107], a[122:123], a[74:75], v[104:107]// 00000000A58C: D3F30068 1DA2957A
	v_mfma_f32_16x16x32_fp8_fp8 v[104:107], a[124:125], a[76:77], v[104:107]// 00000000A594: D3F30068 1DA2997C
	buffer_load_dword v63, s[20:23], 0 offen lds               // 00000000A59C: E0511000 8005003F
	s_add_u32 m0, 0xa00, s49                                   // 00000000A5A4: 807C31FF 00000A00
	v_mfma_f32_16x16x32_fp8_fp8 v[104:107], a[126:127], a[78:79], v[104:107]// 00000000A5AC: D3F30068 1DA29D7E
	v_mfma_f32_16x16x32_fp8_fp8 v[84:87], a[112:113], a[80:81], v[84:87]// 00000000A5B4: D3F30054 1D52A170
	buffer_load_dword v64, s[20:23], 0 offen lds               // 00000000A5BC: E0511000 80050040
	s_add_u32 m0, 0xb00, s49                                   // 00000000A5C4: 807C31FF 00000B00
	v_mfma_f32_16x16x32_fp8_fp8 v[84:87], a[114:115], a[82:83], v[84:87]// 00000000A5CC: D3F30054 1D52A572
	v_mfma_f32_16x16x32_fp8_fp8 v[84:87], a[116:117], a[84:85], v[84:87]// 00000000A5D4: D3F30054 1D52A974
	buffer_load_dword v65, s[20:23], 0 offen lds               // 00000000A5DC: E0511000 80050041
	s_add_u32 m0, 0, s50                                       // 00000000A5E4: 807C3280
	v_mfma_f32_16x16x32_fp8_fp8 v[84:87], a[118:119], a[86:87], v[84:87]// 00000000A5E8: D3F30054 1D52AD76
	v_mfma_f32_16x16x32_fp8_fp8 v[108:111], a[120:121], a[80:81], v[108:111]// 00000000A5F0: D3F3006C 1DB2A178
	v_mfma_f32_16x16x32_fp8_fp8 v[108:111], a[122:123], a[82:83], v[108:111]// 00000000A5F8: D3F3006C 1DB2A57A
	v_mfma_f32_16x16x32_fp8_fp8 v[108:111], a[124:125], a[84:85], v[108:111]// 00000000A600: D3F3006C 1DB2A97C
	v_mfma_f32_16x16x32_fp8_fp8 v[108:111], a[126:127], a[86:87], v[108:111]// 00000000A608: D3F3006C 1DB2AD7E
	v_mfma_f32_16x16x32_fp8_fp8 v[88:91], a[112:113], a[88:89], v[88:91]// 00000000A610: D3F30058 1D62B170
	v_mfma_f32_16x16x32_fp8_fp8 v[88:91], a[114:115], a[90:91], v[88:91]// 00000000A618: D3F30058 1D62B572
	v_mfma_f32_16x16x32_fp8_fp8 v[88:91], a[116:117], a[92:93], v[88:91]// 00000000A620: D3F30058 1D62B974
	v_mfma_f32_16x16x32_fp8_fp8 v[88:91], a[118:119], a[94:95], v[88:91]// 00000000A628: D3F30058 1D62BD76
	v_mfma_f32_16x16x32_fp8_fp8 v[112:115], a[120:121], a[88:89], v[112:115]// 00000000A630: D3F30070 1DC2B178
	v_mfma_f32_16x16x32_fp8_fp8 v[112:115], a[122:123], a[90:91], v[112:115]// 00000000A638: D3F30070 1DC2B57A
	v_mfma_f32_16x16x32_fp8_fp8 v[112:115], a[124:125], a[92:93], v[112:115]// 00000000A640: D3F30070 1DC2B97C
	v_mfma_f32_16x16x32_fp8_fp8 v[112:115], a[126:127], a[94:95], v[112:115]// 00000000A648: D3F30070 1DC2BD7E
	s_waitcnt vmcnt(16)                                        // 00000000A650: BF8C4F70
	s_barrier                                                  // 00000000A654: BF8A0000
	v_mfma_f32_16x16x32_fp8_fp8 v[116:119], a[128:129], a[48:49], v[116:119]// 00000000A658: D3F30074 1DD26180
	buffer_load_dwordx4 a[112:115], v66, s[84:87], 0 offen     // 00000000A660: E05C1000 80957042
	v_mfma_f32_16x16x32_fp8_fp8 v[116:119], a[130:131], a[50:51], v[116:119]// 00000000A668: D3F30074 1DD26582
	v_mfma_f32_16x16x32_fp8_fp8 v[116:119], a[132:133], a[52:53], v[116:119]// 00000000A670: D3F30074 1DD26984
	ds_read_b128 a[0:3], v2                                    // 00000000A678: DBFE0000 00000002
	ds_read_b128 a[4:7], v2 offset:64                          // 00000000A680: DBFE0040 04000002
	v_mfma_f32_16x16x32_fp8_fp8 v[116:119], a[134:135], a[54:55], v[116:119]// 00000000A688: D3F30074 1DD26D86
	v_mfma_f32_16x16x32_fp8_fp8 v[140:143], a[136:137], a[48:49], v[140:143]// 00000000A690: D3F3008C 1E326188
	buffer_load_dwordx4 a[116:119], v66, s[84:87], 0 offen offset:1024// 00000000A698: E05C1400 80957442
	v_mfma_f32_16x16x32_fp8_fp8 v[140:143], a[138:139], a[50:51], v[140:143]// 00000000A6A0: D3F3008C 1E32658A
	v_mfma_f32_16x16x32_fp8_fp8 v[140:143], a[140:141], a[52:53], v[140:143]// 00000000A6A8: D3F3008C 1E32698C
	ds_read_b128 a[8:11], v2 offset:512                        // 00000000A6B0: DBFE0200 08000002
	ds_read_b128 a[12:15], v2 offset:576                       // 00000000A6B8: DBFE0240 0C000002
	v_mfma_f32_16x16x32_fp8_fp8 v[140:143], a[142:143], a[54:55], v[140:143]// 00000000A6C0: D3F3008C 1E326D8E
	v_mfma_f32_16x16x32_fp8_fp8 v[120:123], a[128:129], a[56:57], v[120:123]// 00000000A6C8: D3F30078 1DE27180
	buffer_load_dwordx4 a[120:123], v67, s[84:87], 0 offen     // 00000000A6D0: E05C1000 80957843
	v_mfma_f32_16x16x32_fp8_fp8 v[120:123], a[130:131], a[58:59], v[120:123]// 00000000A6D8: D3F30078 1DE27582
	v_mfma_f32_16x16x32_fp8_fp8 v[120:123], a[132:133], a[60:61], v[120:123]// 00000000A6E0: D3F30078 1DE27984
	ds_read_b128 a[16:19], v2 offset:1024                      // 00000000A6E8: DBFE0400 10000002
	ds_read_b128 a[20:23], v2 offset:1088                      // 00000000A6F0: DBFE0440 14000002
	v_mfma_f32_16x16x32_fp8_fp8 v[120:123], a[134:135], a[62:63], v[120:123]// 00000000A6F8: D3F30078 1DE27D86
	v_mfma_f32_16x16x32_fp8_fp8 v[144:147], a[136:137], a[56:57], v[144:147]// 00000000A700: D3F30090 1E427188
	buffer_load_dwordx4 a[124:127], v67, s[84:87], 0 offen offset:1024// 00000000A708: E05C1400 80957C43
	v_mfma_f32_16x16x32_fp8_fp8 v[144:147], a[138:139], a[58:59], v[144:147]// 00000000A710: D3F30090 1E42758A
	v_mfma_f32_16x16x32_fp8_fp8 v[144:147], a[140:141], a[60:61], v[144:147]// 00000000A718: D3F30090 1E42798C
	ds_read_b128 a[24:27], v2 offset:1536                      // 00000000A720: DBFE0600 18000002
	ds_read_b128 a[28:31], v2 offset:1600                      // 00000000A728: DBFE0640 1C000002
	v_mfma_f32_16x16x32_fp8_fp8 v[144:147], a[142:143], a[62:63], v[144:147]// 00000000A730: D3F30090 1E427D8E
	v_mfma_f32_16x16x32_fp8_fp8 v[124:127], a[128:129], a[64:65], v[124:127]// 00000000A738: D3F3007C 1DF28180
	v_mfma_f32_16x16x32_fp8_fp8 v[124:127], a[130:131], a[66:67], v[124:127]// 00000000A740: D3F3007C 1DF28582
	v_mfma_f32_16x16x32_fp8_fp8 v[124:127], a[132:133], a[68:69], v[124:127]// 00000000A748: D3F3007C 1DF28984
	ds_read_b128 a[32:35], v2 offset:2048                      // 00000000A750: DBFE0800 20000002
	ds_read_b128 a[36:39], v2 offset:2112                      // 00000000A758: DBFE0840 24000002
	v_mfma_f32_16x16x32_fp8_fp8 v[124:127], a[134:135], a[70:71], v[124:127]// 00000000A760: D3F3007C 1DF28D86
	v_mfma_f32_16x16x32_fp8_fp8 v[148:151], a[136:137], a[64:65], v[148:151]// 00000000A768: D3F30094 1E528188
	v_mfma_f32_16x16x32_fp8_fp8 v[148:151], a[138:139], a[66:67], v[148:151]// 00000000A770: D3F30094 1E52858A
	v_mfma_f32_16x16x32_fp8_fp8 v[148:151], a[140:141], a[68:69], v[148:151]// 00000000A778: D3F30094 1E52898C
	ds_read_b128 a[40:43], v2 offset:2560                      // 00000000A780: DBFE0A00 28000002
	ds_read_b128 a[44:47], v2 offset:2624                      // 00000000A788: DBFE0A40 2C000002
	v_mfma_f32_16x16x32_fp8_fp8 v[148:151], a[142:143], a[70:71], v[148:151]// 00000000A790: D3F30094 1E528D8E
	v_mfma_f32_16x16x32_fp8_fp8 v[128:131], a[128:129], a[72:73], v[128:131]// 00000000A798: D3F30080 1E029180
	v_mfma_f32_16x16x32_fp8_fp8 v[128:131], a[130:131], a[74:75], v[128:131]// 00000000A7A0: D3F30080 1E029582
	v_mfma_f32_16x16x32_fp8_fp8 v[128:131], a[132:133], a[76:77], v[128:131]// 00000000A7A8: D3F30080 1E029984
	v_mfma_f32_16x16x32_fp8_fp8 v[128:131], a[134:135], a[78:79], v[128:131]// 00000000A7B0: D3F30080 1E029D86
	v_mfma_f32_16x16x32_fp8_fp8 v[152:155], a[136:137], a[72:73], v[152:155]// 00000000A7B8: D3F30098 1E629188
	v_mfma_f32_16x16x32_fp8_fp8 v[152:155], a[138:139], a[74:75], v[152:155]// 00000000A7C0: D3F30098 1E62958A
	v_mfma_f32_16x16x32_fp8_fp8 v[152:155], a[140:141], a[76:77], v[152:155]// 00000000A7C8: D3F30098 1E62998C
	v_mfma_f32_16x16x32_fp8_fp8 v[152:155], a[142:143], a[78:79], v[152:155]// 00000000A7D0: D3F30098 1E629D8E
	v_mfma_f32_16x16x32_fp8_fp8 v[132:135], a[128:129], a[80:81], v[132:135]// 00000000A7D8: D3F30084 1E12A180
	v_mfma_f32_16x16x32_fp8_fp8 v[132:135], a[130:131], a[82:83], v[132:135]// 00000000A7E0: D3F30084 1E12A582
	v_mfma_f32_16x16x32_fp8_fp8 v[132:135], a[132:133], a[84:85], v[132:135]// 00000000A7E8: D3F30084 1E12A984
	v_mfma_f32_16x16x32_fp8_fp8 v[132:135], a[134:135], a[86:87], v[132:135]// 00000000A7F0: D3F30084 1E12AD86
	v_mfma_f32_16x16x32_fp8_fp8 v[156:159], a[136:137], a[80:81], v[156:159]// 00000000A7F8: D3F3009C 1E72A188
	v_mfma_f32_16x16x32_fp8_fp8 v[156:159], a[138:139], a[82:83], v[156:159]// 00000000A800: D3F3009C 1E72A58A
	v_mfma_f32_16x16x32_fp8_fp8 v[156:159], a[140:141], a[84:85], v[156:159]// 00000000A808: D3F3009C 1E72A98C
	v_mfma_f32_16x16x32_fp8_fp8 v[156:159], a[142:143], a[86:87], v[156:159]// 00000000A810: D3F3009C 1E72AD8E
	v_mfma_f32_16x16x32_fp8_fp8 v[136:139], a[128:129], a[88:89], v[136:139]// 00000000A818: D3F30088 1E22B180
	s_add_u32 s60, 0x180, s80                                  // 00000000A820: 803C50FF 00000180
	s_cmp_lt_u32 s60, s81                                      // 00000000A828: BF0A513C
	s_cselect_b32 s57, s57, 0                                  // 00000000A82C: 85398039
	v_mfma_f32_16x16x32_fp8_fp8 v[136:139], a[130:131], a[90:91], v[136:139]// 00000000A830: D3F30088 1E22B582
	s_add_u32 s60, 0x100, s80                                  // 00000000A838: 803C50FF 00000100
	s_cmp_lt_u32 s60, s81                                      // 00000000A840: BF0A513C
	s_cselect_b32 s58, s58, 0                                  // 00000000A844: 853A803A
	v_mfma_f32_16x16x32_fp8_fp8 v[136:139], a[132:133], a[92:93], v[136:139]// 00000000A848: D3F30088 1E22B984
	s_add_u32 s60, 0x100, s80                                  // 00000000A850: 803C50FF 00000100
	s_cmp_lt_u32 s60, s81                                      // 00000000A858: BF0A513C
	s_cselect_b32 s83, s83, 0                                  // 00000000A85C: 85538053
	v_mfma_f32_16x16x32_fp8_fp8 v[136:139], a[134:135], a[94:95], v[136:139]// 00000000A860: D3F30088 1E22BD86
	s_add_u32 s24, s58, s24                                    // 00000000A868: 8018183A
	s_addc_u32 s25, 0, s25                                     // 00000000A86C: 82191980
	v_mfma_f32_16x16x32_fp8_fp8 v[160:163], a[136:137], a[88:89], v[160:163]// 00000000A870: D3F300A0 1E82B188
	s_add_u32 s20, s57, s20                                    // 00000000A878: 80141439
	s_addc_u32 s21, 0, s21                                     // 00000000A87C: 82151580
	v_mfma_f32_16x16x32_fp8_fp8 v[160:163], a[138:139], a[90:91], v[160:163]// 00000000A880: D3F300A0 1E82B58A
	s_add_u32 s84, s83, s84                                    // 00000000A888: 80545453
	s_addc_u32 s85, 0, s85                                     // 00000000A88C: 82555580
	v_mfma_f32_16x16x32_fp8_fp8 v[160:163], a[140:141], a[92:93], v[160:163]// 00000000A890: D3F300A0 1E82B98C
	v_mfma_f32_16x16x32_fp8_fp8 v[160:163], a[142:143], a[94:95], v[160:163]// 00000000A898: D3F300A0 1E82BD8E
	s_addk_i32 s80, 0x80                                       // 00000000A8A0: B7500080
	s_cmp_lt_i32 s80, s81                                      // 00000000A8A4: BF045150
	s_cbranch_scc0 label_1FAF                                  // 00000000A8A8: BF840001
	s_branch label_1894                                        // 00000000A8AC: BF82F8E5

000000000000a8b0 <label_1FAF>:
	v_mul_f32_dpp v68, v24, v68 row_newbcast:0 row_mask:0xf bank_mask:0xf// 00000000A8B0: 0A8888FA FF015018
	v_mul_f32_dpp v69, v24, v69 row_newbcast:1 row_mask:0xf bank_mask:0xf// 00000000A8B8: 0A8A8AFA FF015118
	v_mul_f32_dpp v70, v24, v70 row_newbcast:2 row_mask:0xf bank_mask:0xf// 00000000A8C0: 0A8C8CFA FF015218
	v_mul_f32_dpp v71, v24, v71 row_newbcast:3 row_mask:0xf bank_mask:0xf// 00000000A8C8: 0A8E8EFA FF015318
	v_mul_f32_dpp v72, v24, v72 row_newbcast:0 row_mask:0xf bank_mask:0xf// 00000000A8D0: 0A9090FA FF015018
	v_mul_f32_dpp v73, v24, v73 row_newbcast:1 row_mask:0xf bank_mask:0xf// 00000000A8D8: 0A9292FA FF015118
	v_mul_f32_dpp v74, v24, v74 row_newbcast:2 row_mask:0xf bank_mask:0xf// 00000000A8E0: 0A9494FA FF015218
	v_mul_f32_dpp v75, v24, v75 row_newbcast:3 row_mask:0xf bank_mask:0xf// 00000000A8E8: 0A9696FA FF015318
	v_mul_f32_dpp v76, v24, v76 row_newbcast:0 row_mask:0xf bank_mask:0xf// 00000000A8F0: 0A9898FA FF015018
	v_mul_f32_dpp v77, v24, v77 row_newbcast:1 row_mask:0xf bank_mask:0xf// 00000000A8F8: 0A9A9AFA FF015118
	v_mul_f32_dpp v78, v24, v78 row_newbcast:2 row_mask:0xf bank_mask:0xf// 00000000A900: 0A9C9CFA FF015218
	v_mul_f32_dpp v79, v24, v79 row_newbcast:3 row_mask:0xf bank_mask:0xf// 00000000A908: 0A9E9EFA FF015318
	v_mul_f32_dpp v80, v24, v80 row_newbcast:0 row_mask:0xf bank_mask:0xf// 00000000A910: 0AA0A0FA FF015018
	v_mul_f32_dpp v81, v24, v81 row_newbcast:1 row_mask:0xf bank_mask:0xf// 00000000A918: 0AA2A2FA FF015118
	v_mul_f32_dpp v82, v24, v82 row_newbcast:2 row_mask:0xf bank_mask:0xf// 00000000A920: 0AA4A4FA FF015218
	v_mul_f32_dpp v83, v24, v83 row_newbcast:3 row_mask:0xf bank_mask:0xf// 00000000A928: 0AA6A6FA FF015318
	v_mul_f32_dpp v84, v24, v84 row_newbcast:0 row_mask:0xf bank_mask:0xf// 00000000A930: 0AA8A8FA FF015018
	v_mul_f32_dpp v85, v24, v85 row_newbcast:1 row_mask:0xf bank_mask:0xf// 00000000A938: 0AAAAAFA FF015118
	v_mul_f32_dpp v86, v24, v86 row_newbcast:2 row_mask:0xf bank_mask:0xf// 00000000A940: 0AACACFA FF015218
	v_mul_f32_dpp v87, v24, v87 row_newbcast:3 row_mask:0xf bank_mask:0xf// 00000000A948: 0AAEAEFA FF015318
	v_mul_f32_dpp v88, v24, v88 row_newbcast:0 row_mask:0xf bank_mask:0xf// 00000000A950: 0AB0B0FA FF015018
	v_mul_f32_dpp v89, v24, v89 row_newbcast:1 row_mask:0xf bank_mask:0xf// 00000000A958: 0AB2B2FA FF015118
	v_mul_f32_dpp v90, v24, v90 row_newbcast:2 row_mask:0xf bank_mask:0xf// 00000000A960: 0AB4B4FA FF015218
	v_mul_f32_dpp v91, v24, v91 row_newbcast:3 row_mask:0xf bank_mask:0xf// 00000000A968: 0AB6B6FA FF015318
	v_mul_f32_dpp v92, v24, v92 row_newbcast:4 row_mask:0xf bank_mask:0xf// 00000000A970: 0AB8B8FA FF015418
	v_mul_f32_dpp v93, v24, v93 row_newbcast:5 row_mask:0xf bank_mask:0xf// 00000000A978: 0ABABAFA FF015518
	v_mul_f32_dpp v94, v24, v94 row_newbcast:6 row_mask:0xf bank_mask:0xf// 00000000A980: 0ABCBCFA FF015618
	v_mul_f32_dpp v95, v24, v95 row_newbcast:7 row_mask:0xf bank_mask:0xf// 00000000A988: 0ABEBEFA FF015718
	v_mul_f32_dpp v96, v24, v96 row_newbcast:4 row_mask:0xf bank_mask:0xf// 00000000A990: 0AC0C0FA FF015418
	v_mul_f32_dpp v97, v24, v97 row_newbcast:5 row_mask:0xf bank_mask:0xf// 00000000A998: 0AC2C2FA FF015518
	v_mul_f32_dpp v98, v24, v98 row_newbcast:6 row_mask:0xf bank_mask:0xf// 00000000A9A0: 0AC4C4FA FF015618
	v_mul_f32_dpp v99, v24, v99 row_newbcast:7 row_mask:0xf bank_mask:0xf// 00000000A9A8: 0AC6C6FA FF015718
	v_mul_f32_dpp v100, v24, v100 row_newbcast:4 row_mask:0xf bank_mask:0xf// 00000000A9B0: 0AC8C8FA FF015418
	v_mul_f32_dpp v101, v24, v101 row_newbcast:5 row_mask:0xf bank_mask:0xf// 00000000A9B8: 0ACACAFA FF015518
	v_mul_f32_dpp v102, v24, v102 row_newbcast:6 row_mask:0xf bank_mask:0xf// 00000000A9C0: 0ACCCCFA FF015618
	v_mul_f32_dpp v103, v24, v103 row_newbcast:7 row_mask:0xf bank_mask:0xf// 00000000A9C8: 0ACECEFA FF015718
	v_mul_f32_dpp v104, v24, v104 row_newbcast:4 row_mask:0xf bank_mask:0xf// 00000000A9D0: 0AD0D0FA FF015418
	v_mul_f32_dpp v105, v24, v105 row_newbcast:5 row_mask:0xf bank_mask:0xf// 00000000A9D8: 0AD2D2FA FF015518
	v_mul_f32_dpp v106, v24, v106 row_newbcast:6 row_mask:0xf bank_mask:0xf// 00000000A9E0: 0AD4D4FA FF015618
	v_mul_f32_dpp v107, v24, v107 row_newbcast:7 row_mask:0xf bank_mask:0xf// 00000000A9E8: 0AD6D6FA FF015718
	v_mul_f32_dpp v108, v24, v108 row_newbcast:4 row_mask:0xf bank_mask:0xf// 00000000A9F0: 0AD8D8FA FF015418
	v_mul_f32_dpp v109, v24, v109 row_newbcast:5 row_mask:0xf bank_mask:0xf// 00000000A9F8: 0ADADAFA FF015518
	v_mul_f32_dpp v110, v24, v110 row_newbcast:6 row_mask:0xf bank_mask:0xf// 00000000AA00: 0ADCDCFA FF015618
	v_mul_f32_dpp v111, v24, v111 row_newbcast:7 row_mask:0xf bank_mask:0xf// 00000000AA08: 0ADEDEFA FF015718
	v_mul_f32_dpp v112, v24, v112 row_newbcast:4 row_mask:0xf bank_mask:0xf// 00000000AA10: 0AE0E0FA FF015418
	v_mul_f32_dpp v113, v24, v113 row_newbcast:5 row_mask:0xf bank_mask:0xf// 00000000AA18: 0AE2E2FA FF015518
	v_mul_f32_dpp v114, v24, v114 row_newbcast:6 row_mask:0xf bank_mask:0xf// 00000000AA20: 0AE4E4FA FF015618
	v_mul_f32_dpp v115, v24, v115 row_newbcast:7 row_mask:0xf bank_mask:0xf// 00000000AA28: 0AE6E6FA FF015718
	v_mul_f32_dpp v116, v27, v116 row_newbcast:0 row_mask:0xf bank_mask:0xf// 00000000AA30: 0AE8E8FA FF01501B
	v_mul_f32_dpp v117, v27, v117 row_newbcast:1 row_mask:0xf bank_mask:0xf// 00000000AA38: 0AEAEAFA FF01511B
	v_mul_f32_dpp v118, v27, v118 row_newbcast:2 row_mask:0xf bank_mask:0xf// 00000000AA40: 0AECECFA FF01521B
	v_mul_f32_dpp v119, v27, v119 row_newbcast:3 row_mask:0xf bank_mask:0xf// 00000000AA48: 0AEEEEFA FF01531B
	v_mul_f32_dpp v120, v27, v120 row_newbcast:0 row_mask:0xf bank_mask:0xf// 00000000AA50: 0AF0F0FA FF01501B
	v_mul_f32_dpp v121, v27, v121 row_newbcast:1 row_mask:0xf bank_mask:0xf// 00000000AA58: 0AF2F2FA FF01511B
	v_mul_f32_dpp v122, v27, v122 row_newbcast:2 row_mask:0xf bank_mask:0xf// 00000000AA60: 0AF4F4FA FF01521B
	v_mul_f32_dpp v123, v27, v123 row_newbcast:3 row_mask:0xf bank_mask:0xf// 00000000AA68: 0AF6F6FA FF01531B
	v_mul_f32_dpp v124, v27, v124 row_newbcast:0 row_mask:0xf bank_mask:0xf// 00000000AA70: 0AF8F8FA FF01501B
	v_mul_f32_dpp v125, v27, v125 row_newbcast:1 row_mask:0xf bank_mask:0xf// 00000000AA78: 0AFAFAFA FF01511B
	v_mul_f32_dpp v126, v27, v126 row_newbcast:2 row_mask:0xf bank_mask:0xf// 00000000AA80: 0AFCFCFA FF01521B
	v_mul_f32_dpp v127, v27, v127 row_newbcast:3 row_mask:0xf bank_mask:0xf// 00000000AA88: 0AFEFEFA FF01531B
	v_mul_f32_dpp v128, v27, v128 row_newbcast:0 row_mask:0xf bank_mask:0xf// 00000000AA90: 0B0100FA FF01501B
	v_mul_f32_dpp v129, v27, v129 row_newbcast:1 row_mask:0xf bank_mask:0xf// 00000000AA98: 0B0302FA FF01511B
	v_mul_f32_dpp v130, v27, v130 row_newbcast:2 row_mask:0xf bank_mask:0xf// 00000000AAA0: 0B0504FA FF01521B
	v_mul_f32_dpp v131, v27, v131 row_newbcast:3 row_mask:0xf bank_mask:0xf// 00000000AAA8: 0B0706FA FF01531B
	v_mul_f32_dpp v132, v27, v132 row_newbcast:0 row_mask:0xf bank_mask:0xf// 00000000AAB0: 0B0908FA FF01501B
	v_mul_f32_dpp v133, v27, v133 row_newbcast:1 row_mask:0xf bank_mask:0xf// 00000000AAB8: 0B0B0AFA FF01511B
	v_mul_f32_dpp v134, v27, v134 row_newbcast:2 row_mask:0xf bank_mask:0xf// 00000000AAC0: 0B0D0CFA FF01521B
	v_mul_f32_dpp v135, v27, v135 row_newbcast:3 row_mask:0xf bank_mask:0xf// 00000000AAC8: 0B0F0EFA FF01531B
	v_mul_f32_dpp v136, v27, v136 row_newbcast:0 row_mask:0xf bank_mask:0xf// 00000000AAD0: 0B1110FA FF01501B
	v_mul_f32_dpp v137, v27, v137 row_newbcast:1 row_mask:0xf bank_mask:0xf// 00000000AAD8: 0B1312FA FF01511B
	v_mul_f32_dpp v138, v27, v138 row_newbcast:2 row_mask:0xf bank_mask:0xf// 00000000AAE0: 0B1514FA FF01521B
	v_mul_f32_dpp v139, v27, v139 row_newbcast:3 row_mask:0xf bank_mask:0xf// 00000000AAE8: 0B1716FA FF01531B
	v_mul_f32_dpp v140, v27, v140 row_newbcast:4 row_mask:0xf bank_mask:0xf// 00000000AAF0: 0B1918FA FF01541B
	v_mul_f32_dpp v141, v27, v141 row_newbcast:5 row_mask:0xf bank_mask:0xf// 00000000AAF8: 0B1B1AFA FF01551B
	v_mul_f32_dpp v142, v27, v142 row_newbcast:6 row_mask:0xf bank_mask:0xf// 00000000AB00: 0B1D1CFA FF01561B
	v_mul_f32_dpp v143, v27, v143 row_newbcast:7 row_mask:0xf bank_mask:0xf// 00000000AB08: 0B1F1EFA FF01571B
	v_mul_f32_dpp v144, v27, v144 row_newbcast:4 row_mask:0xf bank_mask:0xf// 00000000AB10: 0B2120FA FF01541B
	v_mul_f32_dpp v145, v27, v145 row_newbcast:5 row_mask:0xf bank_mask:0xf// 00000000AB18: 0B2322FA FF01551B
	v_mul_f32_dpp v146, v27, v146 row_newbcast:6 row_mask:0xf bank_mask:0xf// 00000000AB20: 0B2524FA FF01561B
	v_mul_f32_dpp v147, v27, v147 row_newbcast:7 row_mask:0xf bank_mask:0xf// 00000000AB28: 0B2726FA FF01571B
	v_mul_f32_dpp v148, v27, v148 row_newbcast:4 row_mask:0xf bank_mask:0xf// 00000000AB30: 0B2928FA FF01541B
	v_mul_f32_dpp v149, v27, v149 row_newbcast:5 row_mask:0xf bank_mask:0xf// 00000000AB38: 0B2B2AFA FF01551B
	v_mul_f32_dpp v150, v27, v150 row_newbcast:6 row_mask:0xf bank_mask:0xf// 00000000AB40: 0B2D2CFA FF01561B
	v_mul_f32_dpp v151, v27, v151 row_newbcast:7 row_mask:0xf bank_mask:0xf// 00000000AB48: 0B2F2EFA FF01571B
	v_mul_f32_dpp v152, v27, v152 row_newbcast:4 row_mask:0xf bank_mask:0xf// 00000000AB50: 0B3130FA FF01541B
	v_mul_f32_dpp v153, v27, v153 row_newbcast:5 row_mask:0xf bank_mask:0xf// 00000000AB58: 0B3332FA FF01551B
	v_mul_f32_dpp v154, v27, v154 row_newbcast:6 row_mask:0xf bank_mask:0xf// 00000000AB60: 0B3534FA FF01561B
	v_mul_f32_dpp v155, v27, v155 row_newbcast:7 row_mask:0xf bank_mask:0xf// 00000000AB68: 0B3736FA FF01571B
	v_mul_f32_dpp v156, v27, v156 row_newbcast:4 row_mask:0xf bank_mask:0xf// 00000000AB70: 0B3938FA FF01541B
	v_mul_f32_dpp v157, v27, v157 row_newbcast:5 row_mask:0xf bank_mask:0xf// 00000000AB78: 0B3B3AFA FF01551B
	v_mul_f32_dpp v158, v27, v158 row_newbcast:6 row_mask:0xf bank_mask:0xf// 00000000AB80: 0B3D3CFA FF01561B
	v_mul_f32_dpp v159, v27, v159 row_newbcast:7 row_mask:0xf bank_mask:0xf// 00000000AB88: 0B3F3EFA FF01571B
	v_mul_f32_dpp v160, v27, v160 row_newbcast:4 row_mask:0xf bank_mask:0xf// 00000000AB90: 0B4140FA FF01541B
	v_mul_f32_dpp v161, v27, v161 row_newbcast:5 row_mask:0xf bank_mask:0xf// 00000000AB98: 0B4342FA FF01551B
	v_mul_f32_dpp v162, v27, v162 row_newbcast:6 row_mask:0xf bank_mask:0xf// 00000000ABA0: 0B4544FA FF01561B
	v_mul_f32_dpp v163, v27, v163 row_newbcast:7 row_mask:0xf bank_mask:0xf// 00000000ABA8: 0B4746FA FF01571B
	v_mul_f32_e32 v36, v36, v164                               // 00000000ABB0: 0A494924
	v_mov_b32_e32 v4, v36                                      // 00000000ABB4: 7E080324
	v_mov_b32_e32 v5, v4                                       // 00000000ABB8: 7E0A0304
	v_pk_mul_f32 v[68:69], v[4:5], v[68:69]                    // 00000000ABBC: D3B14044 18028904
	v_pk_mul_f32 v[116:117], v[4:5], v[116:117]                // 00000000ABC4: D3B14074 1802E904
	v_pk_mul_f32 v[70:71], v[4:5], v[70:71]                    // 00000000ABCC: D3B14046 18028D04
	v_pk_mul_f32 v[118:119], v[4:5], v[118:119]                // 00000000ABD4: D3B14076 1802ED04
	v_pk_mul_f32 v[92:93], v[4:5], v[92:93]                    // 00000000ABDC: D3B1405C 1802B904
	v_pk_mul_f32 v[140:141], v[4:5], v[140:141]                // 00000000ABE4: D3B1408C 18031904
	v_pk_mul_f32 v[94:95], v[4:5], v[94:95]                    // 00000000ABEC: D3B1405E 1802BD04
	v_pk_mul_f32 v[142:143], v[4:5], v[142:143]                // 00000000ABF4: D3B1408E 18031D04
	v_mul_f32_e32 v37, v37, v165                               // 00000000ABFC: 0A4B4B25
	v_mov_b32_e32 v4, v37                                      // 00000000AC00: 7E080325
	v_mov_b32_e32 v5, v4                                       // 00000000AC04: 7E0A0304
	v_pk_mul_f32 v[72:73], v[4:5], v[72:73]                    // 00000000AC08: D3B14048 18029104
	v_pk_mul_f32 v[120:121], v[4:5], v[120:121]                // 00000000AC10: D3B14078 1802F104
	v_pk_mul_f32 v[74:75], v[4:5], v[74:75]                    // 00000000AC18: D3B1404A 18029504
	v_pk_mul_f32 v[122:123], v[4:5], v[122:123]                // 00000000AC20: D3B1407A 1802F504
	v_pk_mul_f32 v[96:97], v[4:5], v[96:97]                    // 00000000AC28: D3B14060 1802C104
	v_pk_mul_f32 v[144:145], v[4:5], v[144:145]                // 00000000AC30: D3B14090 18032104
	v_pk_mul_f32 v[98:99], v[4:5], v[98:99]                    // 00000000AC38: D3B14062 1802C504
	v_pk_mul_f32 v[146:147], v[4:5], v[146:147]                // 00000000AC40: D3B14092 18032504
	v_mul_f32_e32 v38, v38, v166                               // 00000000AC48: 0A4D4D26
	v_mov_b32_e32 v4, v38                                      // 00000000AC4C: 7E080326
	v_mov_b32_e32 v5, v4                                       // 00000000AC50: 7E0A0304
	v_pk_mul_f32 v[76:77], v[4:5], v[76:77]                    // 00000000AC54: D3B1404C 18029904
	v_pk_mul_f32 v[124:125], v[4:5], v[124:125]                // 00000000AC5C: D3B1407C 1802F904
	v_pk_mul_f32 v[78:79], v[4:5], v[78:79]                    // 00000000AC64: D3B1404E 18029D04
	v_pk_mul_f32 v[126:127], v[4:5], v[126:127]                // 00000000AC6C: D3B1407E 1802FD04
	v_pk_mul_f32 v[100:101], v[4:5], v[100:101]                // 00000000AC74: D3B14064 1802C904
	v_pk_mul_f32 v[148:149], v[4:5], v[148:149]                // 00000000AC7C: D3B14094 18032904
	v_pk_mul_f32 v[102:103], v[4:5], v[102:103]                // 00000000AC84: D3B14066 1802CD04
	v_pk_mul_f32 v[150:151], v[4:5], v[150:151]                // 00000000AC8C: D3B14096 18032D04
	v_mul_f32_e32 v39, v39, v167                               // 00000000AC94: 0A4F4F27
	v_mov_b32_e32 v4, v39                                      // 00000000AC98: 7E080327
	v_mov_b32_e32 v5, v4                                       // 00000000AC9C: 7E0A0304
	v_pk_mul_f32 v[80:81], v[4:5], v[80:81]                    // 00000000ACA0: D3B14050 1802A104
	v_pk_mul_f32 v[128:129], v[4:5], v[128:129]                // 00000000ACA8: D3B14080 18030104
	v_pk_mul_f32 v[82:83], v[4:5], v[82:83]                    // 00000000ACB0: D3B14052 1802A504
	v_pk_mul_f32 v[130:131], v[4:5], v[130:131]                // 00000000ACB8: D3B14082 18030504
	v_pk_mul_f32 v[104:105], v[4:5], v[104:105]                // 00000000ACC0: D3B14068 1802D104
	v_pk_mul_f32 v[152:153], v[4:5], v[152:153]                // 00000000ACC8: D3B14098 18033104
	v_pk_mul_f32 v[106:107], v[4:5], v[106:107]                // 00000000ACD0: D3B1406A 1802D504
	v_pk_mul_f32 v[154:155], v[4:5], v[154:155]                // 00000000ACD8: D3B1409A 18033504
	v_mul_f32_e32 v40, v40, v168                               // 00000000ACE0: 0A515128
	v_mov_b32_e32 v4, v40                                      // 00000000ACE4: 7E080328
	v_mov_b32_e32 v5, v4                                       // 00000000ACE8: 7E0A0304
	v_pk_mul_f32 v[84:85], v[4:5], v[84:85]                    // 00000000ACEC: D3B14054 1802A904
	v_pk_mul_f32 v[132:133], v[4:5], v[132:133]                // 00000000ACF4: D3B14084 18030904
	v_pk_mul_f32 v[86:87], v[4:5], v[86:87]                    // 00000000ACFC: D3B14056 1802AD04
	v_pk_mul_f32 v[134:135], v[4:5], v[134:135]                // 00000000AD04: D3B14086 18030D04
	v_pk_mul_f32 v[108:109], v[4:5], v[108:109]                // 00000000AD0C: D3B1406C 1802D904
	v_pk_mul_f32 v[156:157], v[4:5], v[156:157]                // 00000000AD14: D3B1409C 18033904
	v_pk_mul_f32 v[110:111], v[4:5], v[110:111]                // 00000000AD1C: D3B1406E 1802DD04
	v_pk_mul_f32 v[158:159], v[4:5], v[158:159]                // 00000000AD24: D3B1409E 18033D04
	v_mul_f32_e32 v41, v41, v169                               // 00000000AD2C: 0A535329
	v_mov_b32_e32 v4, v41                                      // 00000000AD30: 7E080329
	v_mov_b32_e32 v5, v4                                       // 00000000AD34: 7E0A0304
	v_pk_mul_f32 v[88:89], v[4:5], v[88:89]                    // 00000000AD38: D3B14058 1802B104
	v_pk_mul_f32 v[136:137], v[4:5], v[136:137]                // 00000000AD40: D3B14088 18031104
	v_pk_mul_f32 v[90:91], v[4:5], v[90:91]                    // 00000000AD48: D3B1405A 1802B504
	v_pk_mul_f32 v[138:139], v[4:5], v[138:139]                // 00000000AD50: D3B1408A 18031504
	v_pk_mul_f32 v[112:113], v[4:5], v[112:113]                // 00000000AD58: D3B14070 1802E104
	v_pk_mul_f32 v[160:161], v[4:5], v[160:161]                // 00000000AD60: D3B140A0 18034104
	v_pk_mul_f32 v[114:115], v[4:5], v[114:115]                // 00000000AD68: D3B14072 1802E504
	v_pk_mul_f32 v[162:163], v[4:5], v[162:163]                // 00000000AD70: D3B140A2 18034504
	s_cmp_eq_u32 s88, 0                                        // 00000000AD78: BF068058
	s_cbranch_scc0 label_27F4                                  // 00000000AD7C: BF840711
	s_cmp_eq_u32 s89, 0                                        // 00000000AD80: BF068059
	s_cbranch_scc1 label_22CA                                  // 00000000AD84: BF8501E5
	v_mov_b32_e32 v8, v1                                       // 00000000AD88: 7E100301
	v_mov_b32_e32 v9, v1                                       // 00000000AD8C: 7E120301
	s_mov_b32 s60, s6                                          // 00000000AD90: BEBC0006
	s_mov_b32 s61, s6                                          // 00000000AD94: BEBD0006
	v_pk_mul_f32 v[4:5], v[68:69], v[68:69]                    // 00000000AD98: D3B14004 18028944
	v_pk_mul_f32 v[6:7], v[70:71], v[70:71]                    // 00000000ADA0: D3B14006 18028D46
	v_pk_fma_f32 v[4:5], v[4:5], s[78:79], v[8:9]              // 00000000ADA8: D3B04004 1C209D04
	v_pk_fma_f32 v[6:7], v[6:7], s[78:79], v[8:9]              // 00000000ADB0: D3B04006 1C209D06
	v_pk_mul_f32 v[4:5], v[4:5], v[68:69]                      // 00000000ADB8: D3B14004 18028904
	v_pk_mul_f32 v[6:7], v[6:7], v[70:71]                      // 00000000ADC0: D3B14006 18028D06
	v_pk_mul_f32 v[4:5], v[4:5], s[60:61]                      // 00000000ADC8: D3B14004 18007904
	v_pk_mul_f32 v[6:7], v[6:7], s[60:61]                      // 00000000ADD0: D3B14006 18007906
	v_exp_f32_e32 v4, v4                                       // 00000000ADD8: 7E084104
	v_exp_f32_e32 v5, v5                                       // 00000000ADDC: 7E0A4105
	v_exp_f32_e32 v6, v6                                       // 00000000ADE0: 7E0C4106
	v_exp_f32_e32 v7, v7                                       // 00000000ADE4: 7E0E4107
	v_add_f32_e64 v4, v4, 1.0                                  // 00000000ADE8: D1010004 0001E504
	v_add_f32_e64 v5, v5, 1.0                                  // 00000000ADF0: D1010005 0001E505
	v_add_f32_e64 v6, v6, 1.0                                  // 00000000ADF8: D1010006 0001E506
	v_add_f32_e64 v7, v7, 1.0                                  // 00000000AE00: D1010007 0001E507
	v_rcp_f32_e32 v4, v4                                       // 00000000AE08: 7E084504
	v_rcp_f32_e32 v5, v5                                       // 00000000AE0C: 7E0A4505
	v_rcp_f32_e32 v6, v6                                       // 00000000AE10: 7E0C4506
	v_rcp_f32_e32 v7, v7                                       // 00000000AE14: 7E0E4507
	v_mul_f32_e32 v68, v68, v4                                 // 00000000AE18: 0A880944
	v_mul_f32_e32 v69, v69, v5                                 // 00000000AE1C: 0A8A0B45
	v_mul_f32_e32 v70, v70, v6                                 // 00000000AE20: 0A8C0D46
	v_mul_f32_e32 v71, v71, v7                                 // 00000000AE24: 0A8E0F47
	v_mul_f32_e32 v68, v68, v116                               // 00000000AE28: 0A88E944
	v_mul_f32_e32 v69, v69, v117                               // 00000000AE2C: 0A8AEB45
	v_mul_f32_e32 v70, v70, v118                               // 00000000AE30: 0A8CED46
	v_mul_f32_e32 v71, v71, v119                               // 00000000AE34: 0A8EEF47
	v_pk_mul_f32 v[4:5], v[72:73], v[72:73]                    // 00000000AE38: D3B14004 18029148
	v_pk_mul_f32 v[6:7], v[74:75], v[74:75]                    // 00000000AE40: D3B14006 1802954A
	v_pk_fma_f32 v[4:5], v[4:5], s[78:79], v[8:9]              // 00000000AE48: D3B04004 1C209D04
	v_pk_fma_f32 v[6:7], v[6:7], s[78:79], v[8:9]              // 00000000AE50: D3B04006 1C209D06
	v_pk_mul_f32 v[4:5], v[4:5], v[72:73]                      // 00000000AE58: D3B14004 18029104
	v_pk_mul_f32 v[6:7], v[6:7], v[74:75]                      // 00000000AE60: D3B14006 18029506
	v_pk_mul_f32 v[4:5], v[4:5], s[60:61]                      // 00000000AE68: D3B14004 18007904
	v_pk_mul_f32 v[6:7], v[6:7], s[60:61]                      // 00000000AE70: D3B14006 18007906
	v_exp_f32_e32 v4, v4                                       // 00000000AE78: 7E084104
	v_exp_f32_e32 v5, v5                                       // 00000000AE7C: 7E0A4105
	v_exp_f32_e32 v6, v6                                       // 00000000AE80: 7E0C4106
	v_exp_f32_e32 v7, v7                                       // 00000000AE84: 7E0E4107
	v_add_f32_e64 v4, v4, 1.0                                  // 00000000AE88: D1010004 0001E504
	v_add_f32_e64 v5, v5, 1.0                                  // 00000000AE90: D1010005 0001E505
	v_add_f32_e64 v6, v6, 1.0                                  // 00000000AE98: D1010006 0001E506
	v_add_f32_e64 v7, v7, 1.0                                  // 00000000AEA0: D1010007 0001E507
	v_rcp_f32_e32 v4, v4                                       // 00000000AEA8: 7E084504
	v_rcp_f32_e32 v5, v5                                       // 00000000AEAC: 7E0A4505
	v_rcp_f32_e32 v6, v6                                       // 00000000AEB0: 7E0C4506
	v_rcp_f32_e32 v7, v7                                       // 00000000AEB4: 7E0E4507
	v_mul_f32_e32 v72, v72, v4                                 // 00000000AEB8: 0A900948
	v_mul_f32_e32 v73, v73, v5                                 // 00000000AEBC: 0A920B49
	v_mul_f32_e32 v74, v74, v6                                 // 00000000AEC0: 0A940D4A
	v_mul_f32_e32 v75, v75, v7                                 // 00000000AEC4: 0A960F4B
	v_mul_f32_e32 v72, v72, v120                               // 00000000AEC8: 0A90F148
	v_mul_f32_e32 v73, v73, v121                               // 00000000AECC: 0A92F349
	v_mul_f32_e32 v74, v74, v122                               // 00000000AED0: 0A94F54A
	v_mul_f32_e32 v75, v75, v123                               // 00000000AED4: 0A96F74B
	v_pk_mul_f32 v[4:5], v[76:77], v[76:77]                    // 00000000AED8: D3B14004 1802994C
	v_pk_mul_f32 v[6:7], v[78:79], v[78:79]                    // 00000000AEE0: D3B14006 18029D4E
	v_pk_fma_f32 v[4:5], v[4:5], s[78:79], v[8:9]              // 00000000AEE8: D3B04004 1C209D04
	v_pk_fma_f32 v[6:7], v[6:7], s[78:79], v[8:9]              // 00000000AEF0: D3B04006 1C209D06
	v_pk_mul_f32 v[4:5], v[4:5], v[76:77]                      // 00000000AEF8: D3B14004 18029904
	v_pk_mul_f32 v[6:7], v[6:7], v[78:79]                      // 00000000AF00: D3B14006 18029D06
	v_pk_mul_f32 v[4:5], v[4:5], s[60:61]                      // 00000000AF08: D3B14004 18007904
	v_pk_mul_f32 v[6:7], v[6:7], s[60:61]                      // 00000000AF10: D3B14006 18007906
	v_exp_f32_e32 v4, v4                                       // 00000000AF18: 7E084104
	v_exp_f32_e32 v5, v5                                       // 00000000AF1C: 7E0A4105
	v_exp_f32_e32 v6, v6                                       // 00000000AF20: 7E0C4106
	v_exp_f32_e32 v7, v7                                       // 00000000AF24: 7E0E4107
	v_add_f32_e64 v4, v4, 1.0                                  // 00000000AF28: D1010004 0001E504
	v_add_f32_e64 v5, v5, 1.0                                  // 00000000AF30: D1010005 0001E505
	v_add_f32_e64 v6, v6, 1.0                                  // 00000000AF38: D1010006 0001E506
	v_add_f32_e64 v7, v7, 1.0                                  // 00000000AF40: D1010007 0001E507
	v_rcp_f32_e32 v4, v4                                       // 00000000AF48: 7E084504
	v_rcp_f32_e32 v5, v5                                       // 00000000AF4C: 7E0A4505
	v_rcp_f32_e32 v6, v6                                       // 00000000AF50: 7E0C4506
	v_rcp_f32_e32 v7, v7                                       // 00000000AF54: 7E0E4507
	v_mul_f32_e32 v76, v76, v4                                 // 00000000AF58: 0A98094C
	v_mul_f32_e32 v77, v77, v5                                 // 00000000AF5C: 0A9A0B4D
	v_mul_f32_e32 v78, v78, v6                                 // 00000000AF60: 0A9C0D4E
	v_mul_f32_e32 v79, v79, v7                                 // 00000000AF64: 0A9E0F4F
	v_mul_f32_e32 v76, v76, v124                               // 00000000AF68: 0A98F94C
	v_mul_f32_e32 v77, v77, v125                               // 00000000AF6C: 0A9AFB4D
	v_mul_f32_e32 v78, v78, v126                               // 00000000AF70: 0A9CFD4E
	v_mul_f32_e32 v79, v79, v127                               // 00000000AF74: 0A9EFF4F
	v_pk_mul_f32 v[4:5], v[80:81], v[80:81]                    // 00000000AF78: D3B14004 1802A150
	v_pk_mul_f32 v[6:7], v[82:83], v[82:83]                    // 00000000AF80: D3B14006 1802A552
	v_pk_fma_f32 v[4:5], v[4:5], s[78:79], v[8:9]              // 00000000AF88: D3B04004 1C209D04
	v_pk_fma_f32 v[6:7], v[6:7], s[78:79], v[8:9]              // 00000000AF90: D3B04006 1C209D06
	v_pk_mul_f32 v[4:5], v[4:5], v[80:81]                      // 00000000AF98: D3B14004 1802A104
	v_pk_mul_f32 v[6:7], v[6:7], v[82:83]                      // 00000000AFA0: D3B14006 1802A506
	v_pk_mul_f32 v[4:5], v[4:5], s[60:61]                      // 00000000AFA8: D3B14004 18007904
	v_pk_mul_f32 v[6:7], v[6:7], s[60:61]                      // 00000000AFB0: D3B14006 18007906
	v_exp_f32_e32 v4, v4                                       // 00000000AFB8: 7E084104
	v_exp_f32_e32 v5, v5                                       // 00000000AFBC: 7E0A4105
	v_exp_f32_e32 v6, v6                                       // 00000000AFC0: 7E0C4106
	v_exp_f32_e32 v7, v7                                       // 00000000AFC4: 7E0E4107
	v_add_f32_e64 v4, v4, 1.0                                  // 00000000AFC8: D1010004 0001E504
	v_add_f32_e64 v5, v5, 1.0                                  // 00000000AFD0: D1010005 0001E505
	v_add_f32_e64 v6, v6, 1.0                                  // 00000000AFD8: D1010006 0001E506
	v_add_f32_e64 v7, v7, 1.0                                  // 00000000AFE0: D1010007 0001E507
	v_rcp_f32_e32 v4, v4                                       // 00000000AFE8: 7E084504
	v_rcp_f32_e32 v5, v5                                       // 00000000AFEC: 7E0A4505
	v_rcp_f32_e32 v6, v6                                       // 00000000AFF0: 7E0C4506
	v_rcp_f32_e32 v7, v7                                       // 00000000AFF4: 7E0E4507
	v_mul_f32_e32 v80, v80, v4                                 // 00000000AFF8: 0AA00950
	v_mul_f32_e32 v81, v81, v5                                 // 00000000AFFC: 0AA20B51
	v_mul_f32_e32 v82, v82, v6                                 // 00000000B000: 0AA40D52
	v_mul_f32_e32 v83, v83, v7                                 // 00000000B004: 0AA60F53
	v_mul_f32_e32 v80, v80, v128                               // 00000000B008: 0AA10150
	v_mul_f32_e32 v81, v81, v129                               // 00000000B00C: 0AA30351
	v_mul_f32_e32 v82, v82, v130                               // 00000000B010: 0AA50552
	v_mul_f32_e32 v83, v83, v131                               // 00000000B014: 0AA70753
	v_pk_mul_f32 v[4:5], v[84:85], v[84:85]                    // 00000000B018: D3B14004 1802A954
	v_pk_mul_f32 v[6:7], v[86:87], v[86:87]                    // 00000000B020: D3B14006 1802AD56
	v_pk_fma_f32 v[4:5], v[4:5], s[78:79], v[8:9]              // 00000000B028: D3B04004 1C209D04
	v_pk_fma_f32 v[6:7], v[6:7], s[78:79], v[8:9]              // 00000000B030: D3B04006 1C209D06
	v_pk_mul_f32 v[4:5], v[4:5], v[84:85]                      // 00000000B038: D3B14004 1802A904
	v_pk_mul_f32 v[6:7], v[6:7], v[86:87]                      // 00000000B040: D3B14006 1802AD06
	v_pk_mul_f32 v[4:5], v[4:5], s[60:61]                      // 00000000B048: D3B14004 18007904
	v_pk_mul_f32 v[6:7], v[6:7], s[60:61]                      // 00000000B050: D3B14006 18007906
	v_exp_f32_e32 v4, v4                                       // 00000000B058: 7E084104
	v_exp_f32_e32 v5, v5                                       // 00000000B05C: 7E0A4105
	v_exp_f32_e32 v6, v6                                       // 00000000B060: 7E0C4106
	v_exp_f32_e32 v7, v7                                       // 00000000B064: 7E0E4107
	v_add_f32_e64 v4, v4, 1.0                                  // 00000000B068: D1010004 0001E504
	v_add_f32_e64 v5, v5, 1.0                                  // 00000000B070: D1010005 0001E505
	v_add_f32_e64 v6, v6, 1.0                                  // 00000000B078: D1010006 0001E506
	v_add_f32_e64 v7, v7, 1.0                                  // 00000000B080: D1010007 0001E507
	v_rcp_f32_e32 v4, v4                                       // 00000000B088: 7E084504
	v_rcp_f32_e32 v5, v5                                       // 00000000B08C: 7E0A4505
	v_rcp_f32_e32 v6, v6                                       // 00000000B090: 7E0C4506
	v_rcp_f32_e32 v7, v7                                       // 00000000B094: 7E0E4507
	v_mul_f32_e32 v84, v84, v4                                 // 00000000B098: 0AA80954
	v_mul_f32_e32 v85, v85, v5                                 // 00000000B09C: 0AAA0B55
	v_mul_f32_e32 v86, v86, v6                                 // 00000000B0A0: 0AAC0D56
	v_mul_f32_e32 v87, v87, v7                                 // 00000000B0A4: 0AAE0F57
	v_mul_f32_e32 v84, v84, v132                               // 00000000B0A8: 0AA90954
	v_mul_f32_e32 v85, v85, v133                               // 00000000B0AC: 0AAB0B55
	v_mul_f32_e32 v86, v86, v134                               // 00000000B0B0: 0AAD0D56
	v_mul_f32_e32 v87, v87, v135                               // 00000000B0B4: 0AAF0F57
	v_pk_mul_f32 v[4:5], v[88:89], v[88:89]                    // 00000000B0B8: D3B14004 1802B158
	v_pk_mul_f32 v[6:7], v[90:91], v[90:91]                    // 00000000B0C0: D3B14006 1802B55A
	v_pk_fma_f32 v[4:5], v[4:5], s[78:79], v[8:9]              // 00000000B0C8: D3B04004 1C209D04
	v_pk_fma_f32 v[6:7], v[6:7], s[78:79], v[8:9]              // 00000000B0D0: D3B04006 1C209D06
	v_pk_mul_f32 v[4:5], v[4:5], v[88:89]                      // 00000000B0D8: D3B14004 1802B104
	v_pk_mul_f32 v[6:7], v[6:7], v[90:91]                      // 00000000B0E0: D3B14006 1802B506
	v_pk_mul_f32 v[4:5], v[4:5], s[60:61]                      // 00000000B0E8: D3B14004 18007904
	v_pk_mul_f32 v[6:7], v[6:7], s[60:61]                      // 00000000B0F0: D3B14006 18007906
	v_exp_f32_e32 v4, v4                                       // 00000000B0F8: 7E084104
	v_exp_f32_e32 v5, v5                                       // 00000000B0FC: 7E0A4105
	v_exp_f32_e32 v6, v6                                       // 00000000B100: 7E0C4106
	v_exp_f32_e32 v7, v7                                       // 00000000B104: 7E0E4107
	v_add_f32_e64 v4, v4, 1.0                                  // 00000000B108: D1010004 0001E504
	v_add_f32_e64 v5, v5, 1.0                                  // 00000000B110: D1010005 0001E505
	v_add_f32_e64 v6, v6, 1.0                                  // 00000000B118: D1010006 0001E506
	v_add_f32_e64 v7, v7, 1.0                                  // 00000000B120: D1010007 0001E507
	v_rcp_f32_e32 v4, v4                                       // 00000000B128: 7E084504
	v_rcp_f32_e32 v5, v5                                       // 00000000B12C: 7E0A4505
	v_rcp_f32_e32 v6, v6                                       // 00000000B130: 7E0C4506
	v_rcp_f32_e32 v7, v7                                       // 00000000B134: 7E0E4507
	v_mul_f32_e32 v88, v88, v4                                 // 00000000B138: 0AB00958
	v_mul_f32_e32 v89, v89, v5                                 // 00000000B13C: 0AB20B59
	v_mul_f32_e32 v90, v90, v6                                 // 00000000B140: 0AB40D5A
	v_mul_f32_e32 v91, v91, v7                                 // 00000000B144: 0AB60F5B
	v_mul_f32_e32 v88, v88, v136                               // 00000000B148: 0AB11158
	v_mul_f32_e32 v89, v89, v137                               // 00000000B14C: 0AB31359
	v_mul_f32_e32 v90, v90, v138                               // 00000000B150: 0AB5155A
	v_mul_f32_e32 v91, v91, v139                               // 00000000B154: 0AB7175B
	v_pk_mul_f32 v[4:5], v[92:93], v[92:93]                    // 00000000B158: D3B14004 1802B95C
	v_pk_mul_f32 v[6:7], v[94:95], v[94:95]                    // 00000000B160: D3B14006 1802BD5E
	v_pk_fma_f32 v[4:5], v[4:5], s[78:79], v[8:9]              // 00000000B168: D3B04004 1C209D04
	v_pk_fma_f32 v[6:7], v[6:7], s[78:79], v[8:9]              // 00000000B170: D3B04006 1C209D06
	v_pk_mul_f32 v[4:5], v[4:5], v[92:93]                      // 00000000B178: D3B14004 1802B904
	v_pk_mul_f32 v[6:7], v[6:7], v[94:95]                      // 00000000B180: D3B14006 1802BD06
	v_pk_mul_f32 v[4:5], v[4:5], s[60:61]                      // 00000000B188: D3B14004 18007904
	v_pk_mul_f32 v[6:7], v[6:7], s[60:61]                      // 00000000B190: D3B14006 18007906
	v_exp_f32_e32 v4, v4                                       // 00000000B198: 7E084104
	v_exp_f32_e32 v5, v5                                       // 00000000B19C: 7E0A4105
	v_exp_f32_e32 v6, v6                                       // 00000000B1A0: 7E0C4106
	v_exp_f32_e32 v7, v7                                       // 00000000B1A4: 7E0E4107
	v_add_f32_e64 v4, v4, 1.0                                  // 00000000B1A8: D1010004 0001E504
	v_add_f32_e64 v5, v5, 1.0                                  // 00000000B1B0: D1010005 0001E505
	v_add_f32_e64 v6, v6, 1.0                                  // 00000000B1B8: D1010006 0001E506
	v_add_f32_e64 v7, v7, 1.0                                  // 00000000B1C0: D1010007 0001E507
	v_rcp_f32_e32 v4, v4                                       // 00000000B1C8: 7E084504
	v_rcp_f32_e32 v5, v5                                       // 00000000B1CC: 7E0A4505
	v_rcp_f32_e32 v6, v6                                       // 00000000B1D0: 7E0C4506
	v_rcp_f32_e32 v7, v7                                       // 00000000B1D4: 7E0E4507
	v_mul_f32_e32 v92, v92, v4                                 // 00000000B1D8: 0AB8095C
	v_mul_f32_e32 v93, v93, v5                                 // 00000000B1DC: 0ABA0B5D
	v_mul_f32_e32 v94, v94, v6                                 // 00000000B1E0: 0ABC0D5E
	v_mul_f32_e32 v95, v95, v7                                 // 00000000B1E4: 0ABE0F5F
	v_mul_f32_e32 v92, v92, v140                               // 00000000B1E8: 0AB9195C
	v_mul_f32_e32 v93, v93, v141                               // 00000000B1EC: 0ABB1B5D
	v_mul_f32_e32 v94, v94, v142                               // 00000000B1F0: 0ABD1D5E
	v_mul_f32_e32 v95, v95, v143                               // 00000000B1F4: 0ABF1F5F
	v_pk_mul_f32 v[4:5], v[96:97], v[96:97]                    // 00000000B1F8: D3B14004 1802C160
	v_pk_mul_f32 v[6:7], v[98:99], v[98:99]                    // 00000000B200: D3B14006 1802C562
	v_pk_fma_f32 v[4:5], v[4:5], s[78:79], v[8:9]              // 00000000B208: D3B04004 1C209D04
	v_pk_fma_f32 v[6:7], v[6:7], s[78:79], v[8:9]              // 00000000B210: D3B04006 1C209D06
	v_pk_mul_f32 v[4:5], v[4:5], v[96:97]                      // 00000000B218: D3B14004 1802C104
	v_pk_mul_f32 v[6:7], v[6:7], v[98:99]                      // 00000000B220: D3B14006 1802C506
	v_pk_mul_f32 v[4:5], v[4:5], s[60:61]                      // 00000000B228: D3B14004 18007904
	v_pk_mul_f32 v[6:7], v[6:7], s[60:61]                      // 00000000B230: D3B14006 18007906
	v_exp_f32_e32 v4, v4                                       // 00000000B238: 7E084104
	v_exp_f32_e32 v5, v5                                       // 00000000B23C: 7E0A4105
	v_exp_f32_e32 v6, v6                                       // 00000000B240: 7E0C4106
	v_exp_f32_e32 v7, v7                                       // 00000000B244: 7E0E4107
	v_add_f32_e64 v4, v4, 1.0                                  // 00000000B248: D1010004 0001E504
	v_add_f32_e64 v5, v5, 1.0                                  // 00000000B250: D1010005 0001E505
	v_add_f32_e64 v6, v6, 1.0                                  // 00000000B258: D1010006 0001E506
	v_add_f32_e64 v7, v7, 1.0                                  // 00000000B260: D1010007 0001E507
	v_rcp_f32_e32 v4, v4                                       // 00000000B268: 7E084504
	v_rcp_f32_e32 v5, v5                                       // 00000000B26C: 7E0A4505
	v_rcp_f32_e32 v6, v6                                       // 00000000B270: 7E0C4506
	v_rcp_f32_e32 v7, v7                                       // 00000000B274: 7E0E4507
	v_mul_f32_e32 v96, v96, v4                                 // 00000000B278: 0AC00960
	v_mul_f32_e32 v97, v97, v5                                 // 00000000B27C: 0AC20B61
	v_mul_f32_e32 v98, v98, v6                                 // 00000000B280: 0AC40D62
	v_mul_f32_e32 v99, v99, v7                                 // 00000000B284: 0AC60F63
	v_mul_f32_e32 v96, v96, v144                               // 00000000B288: 0AC12160
	v_mul_f32_e32 v97, v97, v145                               // 00000000B28C: 0AC32361
	v_mul_f32_e32 v98, v98, v146                               // 00000000B290: 0AC52562
	v_mul_f32_e32 v99, v99, v147                               // 00000000B294: 0AC72763
	v_pk_mul_f32 v[4:5], v[100:101], v[100:101]                // 00000000B298: D3B14004 1802C964
	v_pk_mul_f32 v[6:7], v[102:103], v[102:103]                // 00000000B2A0: D3B14006 1802CD66
	v_pk_fma_f32 v[4:5], v[4:5], s[78:79], v[8:9]              // 00000000B2A8: D3B04004 1C209D04
	v_pk_fma_f32 v[6:7], v[6:7], s[78:79], v[8:9]              // 00000000B2B0: D3B04006 1C209D06
	v_pk_mul_f32 v[4:5], v[4:5], v[100:101]                    // 00000000B2B8: D3B14004 1802C904
	v_pk_mul_f32 v[6:7], v[6:7], v[102:103]                    // 00000000B2C0: D3B14006 1802CD06
	v_pk_mul_f32 v[4:5], v[4:5], s[60:61]                      // 00000000B2C8: D3B14004 18007904
	v_pk_mul_f32 v[6:7], v[6:7], s[60:61]                      // 00000000B2D0: D3B14006 18007906
	v_exp_f32_e32 v4, v4                                       // 00000000B2D8: 7E084104
	v_exp_f32_e32 v5, v5                                       // 00000000B2DC: 7E0A4105
	v_exp_f32_e32 v6, v6                                       // 00000000B2E0: 7E0C4106
	v_exp_f32_e32 v7, v7                                       // 00000000B2E4: 7E0E4107
	v_add_f32_e64 v4, v4, 1.0                                  // 00000000B2E8: D1010004 0001E504
	v_add_f32_e64 v5, v5, 1.0                                  // 00000000B2F0: D1010005 0001E505
	v_add_f32_e64 v6, v6, 1.0                                  // 00000000B2F8: D1010006 0001E506
	v_add_f32_e64 v7, v7, 1.0                                  // 00000000B300: D1010007 0001E507
	v_rcp_f32_e32 v4, v4                                       // 00000000B308: 7E084504
	v_rcp_f32_e32 v5, v5                                       // 00000000B30C: 7E0A4505
	v_rcp_f32_e32 v6, v6                                       // 00000000B310: 7E0C4506
	v_rcp_f32_e32 v7, v7                                       // 00000000B314: 7E0E4507
	v_mul_f32_e32 v100, v100, v4                               // 00000000B318: 0AC80964
	v_mul_f32_e32 v101, v101, v5                               // 00000000B31C: 0ACA0B65
	v_mul_f32_e32 v102, v102, v6                               // 00000000B320: 0ACC0D66
	v_mul_f32_e32 v103, v103, v7                               // 00000000B324: 0ACE0F67
	v_mul_f32_e32 v100, v100, v148                             // 00000000B328: 0AC92964
	v_mul_f32_e32 v101, v101, v149                             // 00000000B32C: 0ACB2B65
	v_mul_f32_e32 v102, v102, v150                             // 00000000B330: 0ACD2D66
	v_mul_f32_e32 v103, v103, v151                             // 00000000B334: 0ACF2F67
	v_pk_mul_f32 v[4:5], v[104:105], v[104:105]                // 00000000B338: D3B14004 1802D168
	v_pk_mul_f32 v[6:7], v[106:107], v[106:107]                // 00000000B340: D3B14006 1802D56A
	v_pk_fma_f32 v[4:5], v[4:5], s[78:79], v[8:9]              // 00000000B348: D3B04004 1C209D04
	v_pk_fma_f32 v[6:7], v[6:7], s[78:79], v[8:9]              // 00000000B350: D3B04006 1C209D06
	v_pk_mul_f32 v[4:5], v[4:5], v[104:105]                    // 00000000B358: D3B14004 1802D104
	v_pk_mul_f32 v[6:7], v[6:7], v[106:107]                    // 00000000B360: D3B14006 1802D506
	v_pk_mul_f32 v[4:5], v[4:5], s[60:61]                      // 00000000B368: D3B14004 18007904
	v_pk_mul_f32 v[6:7], v[6:7], s[60:61]                      // 00000000B370: D3B14006 18007906
	v_exp_f32_e32 v4, v4                                       // 00000000B378: 7E084104
	v_exp_f32_e32 v5, v5                                       // 00000000B37C: 7E0A4105
	v_exp_f32_e32 v6, v6                                       // 00000000B380: 7E0C4106
	v_exp_f32_e32 v7, v7                                       // 00000000B384: 7E0E4107
	v_add_f32_e64 v4, v4, 1.0                                  // 00000000B388: D1010004 0001E504
	v_add_f32_e64 v5, v5, 1.0                                  // 00000000B390: D1010005 0001E505
	v_add_f32_e64 v6, v6, 1.0                                  // 00000000B398: D1010006 0001E506
	v_add_f32_e64 v7, v7, 1.0                                  // 00000000B3A0: D1010007 0001E507
	v_rcp_f32_e32 v4, v4                                       // 00000000B3A8: 7E084504
	v_rcp_f32_e32 v5, v5                                       // 00000000B3AC: 7E0A4505
	v_rcp_f32_e32 v6, v6                                       // 00000000B3B0: 7E0C4506
	v_rcp_f32_e32 v7, v7                                       // 00000000B3B4: 7E0E4507
	v_mul_f32_e32 v104, v104, v4                               // 00000000B3B8: 0AD00968
	v_mul_f32_e32 v105, v105, v5                               // 00000000B3BC: 0AD20B69
	v_mul_f32_e32 v106, v106, v6                               // 00000000B3C0: 0AD40D6A
	v_mul_f32_e32 v107, v107, v7                               // 00000000B3C4: 0AD60F6B
	v_mul_f32_e32 v104, v104, v152                             // 00000000B3C8: 0AD13168
	v_mul_f32_e32 v105, v105, v153                             // 00000000B3CC: 0AD33369
	v_mul_f32_e32 v106, v106, v154                             // 00000000B3D0: 0AD5356A
	v_mul_f32_e32 v107, v107, v155                             // 00000000B3D4: 0AD7376B
	v_pk_mul_f32 v[4:5], v[108:109], v[108:109]                // 00000000B3D8: D3B14004 1802D96C
	v_pk_mul_f32 v[6:7], v[110:111], v[110:111]                // 00000000B3E0: D3B14006 1802DD6E
	v_pk_fma_f32 v[4:5], v[4:5], s[78:79], v[8:9]              // 00000000B3E8: D3B04004 1C209D04
	v_pk_fma_f32 v[6:7], v[6:7], s[78:79], v[8:9]              // 00000000B3F0: D3B04006 1C209D06
	v_pk_mul_f32 v[4:5], v[4:5], v[108:109]                    // 00000000B3F8: D3B14004 1802D904
	v_pk_mul_f32 v[6:7], v[6:7], v[110:111]                    // 00000000B400: D3B14006 1802DD06
	v_pk_mul_f32 v[4:5], v[4:5], s[60:61]                      // 00000000B408: D3B14004 18007904
	v_pk_mul_f32 v[6:7], v[6:7], s[60:61]                      // 00000000B410: D3B14006 18007906
	v_exp_f32_e32 v4, v4                                       // 00000000B418: 7E084104
	v_exp_f32_e32 v5, v5                                       // 00000000B41C: 7E0A4105
	v_exp_f32_e32 v6, v6                                       // 00000000B420: 7E0C4106
	v_exp_f32_e32 v7, v7                                       // 00000000B424: 7E0E4107
	v_add_f32_e64 v4, v4, 1.0                                  // 00000000B428: D1010004 0001E504
	v_add_f32_e64 v5, v5, 1.0                                  // 00000000B430: D1010005 0001E505
	v_add_f32_e64 v6, v6, 1.0                                  // 00000000B438: D1010006 0001E506
	v_add_f32_e64 v7, v7, 1.0                                  // 00000000B440: D1010007 0001E507
	v_rcp_f32_e32 v4, v4                                       // 00000000B448: 7E084504
	v_rcp_f32_e32 v5, v5                                       // 00000000B44C: 7E0A4505
	v_rcp_f32_e32 v6, v6                                       // 00000000B450: 7E0C4506
	v_rcp_f32_e32 v7, v7                                       // 00000000B454: 7E0E4507
	v_mul_f32_e32 v108, v108, v4                               // 00000000B458: 0AD8096C
	v_mul_f32_e32 v109, v109, v5                               // 00000000B45C: 0ADA0B6D
	v_mul_f32_e32 v110, v110, v6                               // 00000000B460: 0ADC0D6E
	v_mul_f32_e32 v111, v111, v7                               // 00000000B464: 0ADE0F6F
	v_mul_f32_e32 v108, v108, v156                             // 00000000B468: 0AD9396C
	v_mul_f32_e32 v109, v109, v157                             // 00000000B46C: 0ADB3B6D
	v_mul_f32_e32 v110, v110, v158                             // 00000000B470: 0ADD3D6E
	v_mul_f32_e32 v111, v111, v159                             // 00000000B474: 0ADF3F6F
	v_pk_mul_f32 v[4:5], v[112:113], v[112:113]                // 00000000B478: D3B14004 1802E170
	v_pk_mul_f32 v[6:7], v[114:115], v[114:115]                // 00000000B480: D3B14006 1802E572
	v_pk_fma_f32 v[4:5], v[4:5], s[78:79], v[8:9]              // 00000000B488: D3B04004 1C209D04
	v_pk_fma_f32 v[6:7], v[6:7], s[78:79], v[8:9]              // 00000000B490: D3B04006 1C209D06
	v_pk_mul_f32 v[4:5], v[4:5], v[112:113]                    // 00000000B498: D3B14004 1802E104
	v_pk_mul_f32 v[6:7], v[6:7], v[114:115]                    // 00000000B4A0: D3B14006 1802E506
	v_pk_mul_f32 v[4:5], v[4:5], s[60:61]                      // 00000000B4A8: D3B14004 18007904
	v_pk_mul_f32 v[6:7], v[6:7], s[60:61]                      // 00000000B4B0: D3B14006 18007906
	v_exp_f32_e32 v4, v4                                       // 00000000B4B8: 7E084104
	v_exp_f32_e32 v5, v5                                       // 00000000B4BC: 7E0A4105
	v_exp_f32_e32 v6, v6                                       // 00000000B4C0: 7E0C4106
	v_exp_f32_e32 v7, v7                                       // 00000000B4C4: 7E0E4107
	v_add_f32_e64 v4, v4, 1.0                                  // 00000000B4C8: D1010004 0001E504
	v_add_f32_e64 v5, v5, 1.0                                  // 00000000B4D0: D1010005 0001E505
	v_add_f32_e64 v6, v6, 1.0                                  // 00000000B4D8: D1010006 0001E506
	v_add_f32_e64 v7, v7, 1.0                                  // 00000000B4E0: D1010007 0001E507
	v_rcp_f32_e32 v4, v4                                       // 00000000B4E8: 7E084504
	v_rcp_f32_e32 v5, v5                                       // 00000000B4EC: 7E0A4505
	v_rcp_f32_e32 v6, v6                                       // 00000000B4F0: 7E0C4506
	v_rcp_f32_e32 v7, v7                                       // 00000000B4F4: 7E0E4507
	v_mul_f32_e32 v112, v112, v4                               // 00000000B4F8: 0AE00970
	v_mul_f32_e32 v113, v113, v5                               // 00000000B4FC: 0AE20B71
	v_mul_f32_e32 v114, v114, v6                               // 00000000B500: 0AE40D72
	v_mul_f32_e32 v115, v115, v7                               // 00000000B504: 0AE60F73
	v_mul_f32_e32 v112, v112, v160                             // 00000000B508: 0AE14170
	v_mul_f32_e32 v113, v113, v161                             // 00000000B50C: 0AE34371
	v_mul_f32_e32 v114, v114, v162                             // 00000000B510: 0AE54572
	v_mul_f32_e32 v115, v115, v163                             // 00000000B514: 0AE74773
	s_branch label_244A                                        // 00000000B518: BF820180

000000000000b51c <label_22CA>:
	v_mul_f32_e64 v4, -v68, s6                                 // 00000000B51C: D1050004 20000D44
	v_mul_f32_e64 v5, -v69, s6                                 // 00000000B524: D1050005 20000D45
	v_mul_f32_e64 v6, -v70, s6                                 // 00000000B52C: D1050006 20000D46
	v_mul_f32_e64 v7, -v71, s6                                 // 00000000B534: D1050007 20000D47
	v_exp_f32_e32 v4, v4                                       // 00000000B53C: 7E084104
	v_exp_f32_e32 v5, v5                                       // 00000000B540: 7E0A4105
	v_exp_f32_e32 v6, v6                                       // 00000000B544: 7E0C4106
	v_exp_f32_e32 v7, v7                                       // 00000000B548: 7E0E4107
	v_add_f32_e64 v4, v4, 1.0                                  // 00000000B54C: D1010004 0001E504
	v_add_f32_e64 v5, v5, 1.0                                  // 00000000B554: D1010005 0001E505
	v_add_f32_e64 v6, v6, 1.0                                  // 00000000B55C: D1010006 0001E506
	v_add_f32_e64 v7, v7, 1.0                                  // 00000000B564: D1010007 0001E507
	v_rcp_f32_e32 v4, v4                                       // 00000000B56C: 7E084504
	v_rcp_f32_e32 v5, v5                                       // 00000000B570: 7E0A4505
	v_rcp_f32_e32 v6, v6                                       // 00000000B574: 7E0C4506
	v_rcp_f32_e32 v7, v7                                       // 00000000B578: 7E0E4507
	v_mul_f32_e32 v68, v68, v4                                 // 00000000B57C: 0A880944
	v_mul_f32_e32 v69, v69, v5                                 // 00000000B580: 0A8A0B45
	v_mul_f32_e32 v70, v70, v6                                 // 00000000B584: 0A8C0D46
	v_mul_f32_e32 v71, v71, v7                                 // 00000000B588: 0A8E0F47
	v_mul_f32_e32 v68, v68, v116                               // 00000000B58C: 0A88E944
	v_mul_f32_e32 v69, v69, v117                               // 00000000B590: 0A8AEB45
	v_mul_f32_e32 v70, v70, v118                               // 00000000B594: 0A8CED46
	v_mul_f32_e32 v71, v71, v119                               // 00000000B598: 0A8EEF47
	v_mul_f32_e64 v4, -v72, s6                                 // 00000000B59C: D1050004 20000D48
	v_mul_f32_e64 v5, -v73, s6                                 // 00000000B5A4: D1050005 20000D49
	v_mul_f32_e64 v6, -v74, s6                                 // 00000000B5AC: D1050006 20000D4A
	v_mul_f32_e64 v7, -v75, s6                                 // 00000000B5B4: D1050007 20000D4B
	v_exp_f32_e32 v4, v4                                       // 00000000B5BC: 7E084104
	v_exp_f32_e32 v5, v5                                       // 00000000B5C0: 7E0A4105
	v_exp_f32_e32 v6, v6                                       // 00000000B5C4: 7E0C4106
	v_exp_f32_e32 v7, v7                                       // 00000000B5C8: 7E0E4107
	v_add_f32_e64 v4, v4, 1.0                                  // 00000000B5CC: D1010004 0001E504
	v_add_f32_e64 v5, v5, 1.0                                  // 00000000B5D4: D1010005 0001E505
	v_add_f32_e64 v6, v6, 1.0                                  // 00000000B5DC: D1010006 0001E506
	v_add_f32_e64 v7, v7, 1.0                                  // 00000000B5E4: D1010007 0001E507
	v_rcp_f32_e32 v4, v4                                       // 00000000B5EC: 7E084504
	v_rcp_f32_e32 v5, v5                                       // 00000000B5F0: 7E0A4505
	v_rcp_f32_e32 v6, v6                                       // 00000000B5F4: 7E0C4506
	v_rcp_f32_e32 v7, v7                                       // 00000000B5F8: 7E0E4507
	v_mul_f32_e32 v72, v72, v4                                 // 00000000B5FC: 0A900948
	v_mul_f32_e32 v73, v73, v5                                 // 00000000B600: 0A920B49
	v_mul_f32_e32 v74, v74, v6                                 // 00000000B604: 0A940D4A
	v_mul_f32_e32 v75, v75, v7                                 // 00000000B608: 0A960F4B
	v_mul_f32_e32 v72, v72, v120                               // 00000000B60C: 0A90F148
	v_mul_f32_e32 v73, v73, v121                               // 00000000B610: 0A92F349
	v_mul_f32_e32 v74, v74, v122                               // 00000000B614: 0A94F54A
	v_mul_f32_e32 v75, v75, v123                               // 00000000B618: 0A96F74B
	v_mul_f32_e64 v4, -v76, s6                                 // 00000000B61C: D1050004 20000D4C
	v_mul_f32_e64 v5, -v77, s6                                 // 00000000B624: D1050005 20000D4D
	v_mul_f32_e64 v6, -v78, s6                                 // 00000000B62C: D1050006 20000D4E
	v_mul_f32_e64 v7, -v79, s6                                 // 00000000B634: D1050007 20000D4F
	v_exp_f32_e32 v4, v4                                       // 00000000B63C: 7E084104
	v_exp_f32_e32 v5, v5                                       // 00000000B640: 7E0A4105
	v_exp_f32_e32 v6, v6                                       // 00000000B644: 7E0C4106
	v_exp_f32_e32 v7, v7                                       // 00000000B648: 7E0E4107
	v_add_f32_e64 v4, v4, 1.0                                  // 00000000B64C: D1010004 0001E504
	v_add_f32_e64 v5, v5, 1.0                                  // 00000000B654: D1010005 0001E505
	v_add_f32_e64 v6, v6, 1.0                                  // 00000000B65C: D1010006 0001E506
	v_add_f32_e64 v7, v7, 1.0                                  // 00000000B664: D1010007 0001E507
	v_rcp_f32_e32 v4, v4                                       // 00000000B66C: 7E084504
	v_rcp_f32_e32 v5, v5                                       // 00000000B670: 7E0A4505
	v_rcp_f32_e32 v6, v6                                       // 00000000B674: 7E0C4506
	v_rcp_f32_e32 v7, v7                                       // 00000000B678: 7E0E4507
	v_mul_f32_e32 v76, v76, v4                                 // 00000000B67C: 0A98094C
	v_mul_f32_e32 v77, v77, v5                                 // 00000000B680: 0A9A0B4D
	v_mul_f32_e32 v78, v78, v6                                 // 00000000B684: 0A9C0D4E
	v_mul_f32_e32 v79, v79, v7                                 // 00000000B688: 0A9E0F4F
	v_mul_f32_e32 v76, v76, v124                               // 00000000B68C: 0A98F94C
	v_mul_f32_e32 v77, v77, v125                               // 00000000B690: 0A9AFB4D
	v_mul_f32_e32 v78, v78, v126                               // 00000000B694: 0A9CFD4E
	v_mul_f32_e32 v79, v79, v127                               // 00000000B698: 0A9EFF4F
	v_mul_f32_e64 v4, -v80, s6                                 // 00000000B69C: D1050004 20000D50
	v_mul_f32_e64 v5, -v81, s6                                 // 00000000B6A4: D1050005 20000D51
	v_mul_f32_e64 v6, -v82, s6                                 // 00000000B6AC: D1050006 20000D52
	v_mul_f32_e64 v7, -v83, s6                                 // 00000000B6B4: D1050007 20000D53
	v_exp_f32_e32 v4, v4                                       // 00000000B6BC: 7E084104
	v_exp_f32_e32 v5, v5                                       // 00000000B6C0: 7E0A4105
	v_exp_f32_e32 v6, v6                                       // 00000000B6C4: 7E0C4106
	v_exp_f32_e32 v7, v7                                       // 00000000B6C8: 7E0E4107
	v_add_f32_e64 v4, v4, 1.0                                  // 00000000B6CC: D1010004 0001E504
	v_add_f32_e64 v5, v5, 1.0                                  // 00000000B6D4: D1010005 0001E505
	v_add_f32_e64 v6, v6, 1.0                                  // 00000000B6DC: D1010006 0001E506
	v_add_f32_e64 v7, v7, 1.0                                  // 00000000B6E4: D1010007 0001E507
	v_rcp_f32_e32 v4, v4                                       // 00000000B6EC: 7E084504
	v_rcp_f32_e32 v5, v5                                       // 00000000B6F0: 7E0A4505
	v_rcp_f32_e32 v6, v6                                       // 00000000B6F4: 7E0C4506
	v_rcp_f32_e32 v7, v7                                       // 00000000B6F8: 7E0E4507
	v_mul_f32_e32 v80, v80, v4                                 // 00000000B6FC: 0AA00950
	v_mul_f32_e32 v81, v81, v5                                 // 00000000B700: 0AA20B51
	v_mul_f32_e32 v82, v82, v6                                 // 00000000B704: 0AA40D52
	v_mul_f32_e32 v83, v83, v7                                 // 00000000B708: 0AA60F53
	v_mul_f32_e32 v80, v80, v128                               // 00000000B70C: 0AA10150
	v_mul_f32_e32 v81, v81, v129                               // 00000000B710: 0AA30351
	v_mul_f32_e32 v82, v82, v130                               // 00000000B714: 0AA50552
	v_mul_f32_e32 v83, v83, v131                               // 00000000B718: 0AA70753
	v_mul_f32_e64 v4, -v84, s6                                 // 00000000B71C: D1050004 20000D54
	v_mul_f32_e64 v5, -v85, s6                                 // 00000000B724: D1050005 20000D55
	v_mul_f32_e64 v6, -v86, s6                                 // 00000000B72C: D1050006 20000D56
	v_mul_f32_e64 v7, -v87, s6                                 // 00000000B734: D1050007 20000D57
	v_exp_f32_e32 v4, v4                                       // 00000000B73C: 7E084104
	v_exp_f32_e32 v5, v5                                       // 00000000B740: 7E0A4105
	v_exp_f32_e32 v6, v6                                       // 00000000B744: 7E0C4106
	v_exp_f32_e32 v7, v7                                       // 00000000B748: 7E0E4107
	v_add_f32_e64 v4, v4, 1.0                                  // 00000000B74C: D1010004 0001E504
	v_add_f32_e64 v5, v5, 1.0                                  // 00000000B754: D1010005 0001E505
	v_add_f32_e64 v6, v6, 1.0                                  // 00000000B75C: D1010006 0001E506
	v_add_f32_e64 v7, v7, 1.0                                  // 00000000B764: D1010007 0001E507
	v_rcp_f32_e32 v4, v4                                       // 00000000B76C: 7E084504
	v_rcp_f32_e32 v5, v5                                       // 00000000B770: 7E0A4505
	v_rcp_f32_e32 v6, v6                                       // 00000000B774: 7E0C4506
	v_rcp_f32_e32 v7, v7                                       // 00000000B778: 7E0E4507
	v_mul_f32_e32 v84, v84, v4                                 // 00000000B77C: 0AA80954
	v_mul_f32_e32 v85, v85, v5                                 // 00000000B780: 0AAA0B55
	v_mul_f32_e32 v86, v86, v6                                 // 00000000B784: 0AAC0D56
	v_mul_f32_e32 v87, v87, v7                                 // 00000000B788: 0AAE0F57
	v_mul_f32_e32 v84, v84, v132                               // 00000000B78C: 0AA90954
	v_mul_f32_e32 v85, v85, v133                               // 00000000B790: 0AAB0B55
	v_mul_f32_e32 v86, v86, v134                               // 00000000B794: 0AAD0D56
	v_mul_f32_e32 v87, v87, v135                               // 00000000B798: 0AAF0F57
	v_mul_f32_e64 v4, -v88, s6                                 // 00000000B79C: D1050004 20000D58
	v_mul_f32_e64 v5, -v89, s6                                 // 00000000B7A4: D1050005 20000D59
	v_mul_f32_e64 v6, -v90, s6                                 // 00000000B7AC: D1050006 20000D5A
	v_mul_f32_e64 v7, -v91, s6                                 // 00000000B7B4: D1050007 20000D5B
	v_exp_f32_e32 v4, v4                                       // 00000000B7BC: 7E084104
	v_exp_f32_e32 v5, v5                                       // 00000000B7C0: 7E0A4105
	v_exp_f32_e32 v6, v6                                       // 00000000B7C4: 7E0C4106
	v_exp_f32_e32 v7, v7                                       // 00000000B7C8: 7E0E4107
	v_add_f32_e64 v4, v4, 1.0                                  // 00000000B7CC: D1010004 0001E504
	v_add_f32_e64 v5, v5, 1.0                                  // 00000000B7D4: D1010005 0001E505
	v_add_f32_e64 v6, v6, 1.0                                  // 00000000B7DC: D1010006 0001E506
	v_add_f32_e64 v7, v7, 1.0                                  // 00000000B7E4: D1010007 0001E507
	v_rcp_f32_e32 v4, v4                                       // 00000000B7EC: 7E084504
	v_rcp_f32_e32 v5, v5                                       // 00000000B7F0: 7E0A4505
	v_rcp_f32_e32 v6, v6                                       // 00000000B7F4: 7E0C4506
	v_rcp_f32_e32 v7, v7                                       // 00000000B7F8: 7E0E4507
	v_mul_f32_e32 v88, v88, v4                                 // 00000000B7FC: 0AB00958
	v_mul_f32_e32 v89, v89, v5                                 // 00000000B800: 0AB20B59
	v_mul_f32_e32 v90, v90, v6                                 // 00000000B804: 0AB40D5A
	v_mul_f32_e32 v91, v91, v7                                 // 00000000B808: 0AB60F5B
	v_mul_f32_e32 v88, v88, v136                               // 00000000B80C: 0AB11158
	v_mul_f32_e32 v89, v89, v137                               // 00000000B810: 0AB31359
	v_mul_f32_e32 v90, v90, v138                               // 00000000B814: 0AB5155A
	v_mul_f32_e32 v91, v91, v139                               // 00000000B818: 0AB7175B
	v_mul_f32_e64 v4, -v92, s6                                 // 00000000B81C: D1050004 20000D5C
	v_mul_f32_e64 v5, -v93, s6                                 // 00000000B824: D1050005 20000D5D
	v_mul_f32_e64 v6, -v94, s6                                 // 00000000B82C: D1050006 20000D5E
	v_mul_f32_e64 v7, -v95, s6                                 // 00000000B834: D1050007 20000D5F
	v_exp_f32_e32 v4, v4                                       // 00000000B83C: 7E084104
	v_exp_f32_e32 v5, v5                                       // 00000000B840: 7E0A4105
	v_exp_f32_e32 v6, v6                                       // 00000000B844: 7E0C4106
	v_exp_f32_e32 v7, v7                                       // 00000000B848: 7E0E4107
	v_add_f32_e64 v4, v4, 1.0                                  // 00000000B84C: D1010004 0001E504
	v_add_f32_e64 v5, v5, 1.0                                  // 00000000B854: D1010005 0001E505
	v_add_f32_e64 v6, v6, 1.0                                  // 00000000B85C: D1010006 0001E506
	v_add_f32_e64 v7, v7, 1.0                                  // 00000000B864: D1010007 0001E507
	v_rcp_f32_e32 v4, v4                                       // 00000000B86C: 7E084504
	v_rcp_f32_e32 v5, v5                                       // 00000000B870: 7E0A4505
	v_rcp_f32_e32 v6, v6                                       // 00000000B874: 7E0C4506
	v_rcp_f32_e32 v7, v7                                       // 00000000B878: 7E0E4507
	v_mul_f32_e32 v92, v92, v4                                 // 00000000B87C: 0AB8095C
	v_mul_f32_e32 v93, v93, v5                                 // 00000000B880: 0ABA0B5D
	v_mul_f32_e32 v94, v94, v6                                 // 00000000B884: 0ABC0D5E
	v_mul_f32_e32 v95, v95, v7                                 // 00000000B888: 0ABE0F5F
	v_mul_f32_e32 v92, v92, v140                               // 00000000B88C: 0AB9195C
	v_mul_f32_e32 v93, v93, v141                               // 00000000B890: 0ABB1B5D
	v_mul_f32_e32 v94, v94, v142                               // 00000000B894: 0ABD1D5E
	v_mul_f32_e32 v95, v95, v143                               // 00000000B898: 0ABF1F5F
	v_mul_f32_e64 v4, -v96, s6                                 // 00000000B89C: D1050004 20000D60
	v_mul_f32_e64 v5, -v97, s6                                 // 00000000B8A4: D1050005 20000D61
	v_mul_f32_e64 v6, -v98, s6                                 // 00000000B8AC: D1050006 20000D62
	v_mul_f32_e64 v7, -v99, s6                                 // 00000000B8B4: D1050007 20000D63
	v_exp_f32_e32 v4, v4                                       // 00000000B8BC: 7E084104
	v_exp_f32_e32 v5, v5                                       // 00000000B8C0: 7E0A4105
	v_exp_f32_e32 v6, v6                                       // 00000000B8C4: 7E0C4106
	v_exp_f32_e32 v7, v7                                       // 00000000B8C8: 7E0E4107
	v_add_f32_e64 v4, v4, 1.0                                  // 00000000B8CC: D1010004 0001E504
	v_add_f32_e64 v5, v5, 1.0                                  // 00000000B8D4: D1010005 0001E505
	v_add_f32_e64 v6, v6, 1.0                                  // 00000000B8DC: D1010006 0001E506
	v_add_f32_e64 v7, v7, 1.0                                  // 00000000B8E4: D1010007 0001E507
	v_rcp_f32_e32 v4, v4                                       // 00000000B8EC: 7E084504
	v_rcp_f32_e32 v5, v5                                       // 00000000B8F0: 7E0A4505
	v_rcp_f32_e32 v6, v6                                       // 00000000B8F4: 7E0C4506
	v_rcp_f32_e32 v7, v7                                       // 00000000B8F8: 7E0E4507
	v_mul_f32_e32 v96, v96, v4                                 // 00000000B8FC: 0AC00960
	v_mul_f32_e32 v97, v97, v5                                 // 00000000B900: 0AC20B61
	v_mul_f32_e32 v98, v98, v6                                 // 00000000B904: 0AC40D62
	v_mul_f32_e32 v99, v99, v7                                 // 00000000B908: 0AC60F63
	v_mul_f32_e32 v96, v96, v144                               // 00000000B90C: 0AC12160
	v_mul_f32_e32 v97, v97, v145                               // 00000000B910: 0AC32361
	v_mul_f32_e32 v98, v98, v146                               // 00000000B914: 0AC52562
	v_mul_f32_e32 v99, v99, v147                               // 00000000B918: 0AC72763
	v_mul_f32_e64 v4, -v100, s6                                // 00000000B91C: D1050004 20000D64
	v_mul_f32_e64 v5, -v101, s6                                // 00000000B924: D1050005 20000D65
	v_mul_f32_e64 v6, -v102, s6                                // 00000000B92C: D1050006 20000D66
	v_mul_f32_e64 v7, -v103, s6                                // 00000000B934: D1050007 20000D67
	v_exp_f32_e32 v4, v4                                       // 00000000B93C: 7E084104
	v_exp_f32_e32 v5, v5                                       // 00000000B940: 7E0A4105
	v_exp_f32_e32 v6, v6                                       // 00000000B944: 7E0C4106
	v_exp_f32_e32 v7, v7                                       // 00000000B948: 7E0E4107
	v_add_f32_e64 v4, v4, 1.0                                  // 00000000B94C: D1010004 0001E504
	v_add_f32_e64 v5, v5, 1.0                                  // 00000000B954: D1010005 0001E505
	v_add_f32_e64 v6, v6, 1.0                                  // 00000000B95C: D1010006 0001E506
	v_add_f32_e64 v7, v7, 1.0                                  // 00000000B964: D1010007 0001E507
	v_rcp_f32_e32 v4, v4                                       // 00000000B96C: 7E084504
	v_rcp_f32_e32 v5, v5                                       // 00000000B970: 7E0A4505
	v_rcp_f32_e32 v6, v6                                       // 00000000B974: 7E0C4506
	v_rcp_f32_e32 v7, v7                                       // 00000000B978: 7E0E4507
	v_mul_f32_e32 v100, v100, v4                               // 00000000B97C: 0AC80964
	v_mul_f32_e32 v101, v101, v5                               // 00000000B980: 0ACA0B65
	v_mul_f32_e32 v102, v102, v6                               // 00000000B984: 0ACC0D66
	v_mul_f32_e32 v103, v103, v7                               // 00000000B988: 0ACE0F67
	v_mul_f32_e32 v100, v100, v148                             // 00000000B98C: 0AC92964
	v_mul_f32_e32 v101, v101, v149                             // 00000000B990: 0ACB2B65
	v_mul_f32_e32 v102, v102, v150                             // 00000000B994: 0ACD2D66
	v_mul_f32_e32 v103, v103, v151                             // 00000000B998: 0ACF2F67
	v_mul_f32_e64 v4, -v104, s6                                // 00000000B99C: D1050004 20000D68
	v_mul_f32_e64 v5, -v105, s6                                // 00000000B9A4: D1050005 20000D69
	v_mul_f32_e64 v6, -v106, s6                                // 00000000B9AC: D1050006 20000D6A
	v_mul_f32_e64 v7, -v107, s6                                // 00000000B9B4: D1050007 20000D6B
	v_exp_f32_e32 v4, v4                                       // 00000000B9BC: 7E084104
	v_exp_f32_e32 v5, v5                                       // 00000000B9C0: 7E0A4105
	v_exp_f32_e32 v6, v6                                       // 00000000B9C4: 7E0C4106
	v_exp_f32_e32 v7, v7                                       // 00000000B9C8: 7E0E4107
	v_add_f32_e64 v4, v4, 1.0                                  // 00000000B9CC: D1010004 0001E504
	v_add_f32_e64 v5, v5, 1.0                                  // 00000000B9D4: D1010005 0001E505
	v_add_f32_e64 v6, v6, 1.0                                  // 00000000B9DC: D1010006 0001E506
	v_add_f32_e64 v7, v7, 1.0                                  // 00000000B9E4: D1010007 0001E507
	v_rcp_f32_e32 v4, v4                                       // 00000000B9EC: 7E084504
	v_rcp_f32_e32 v5, v5                                       // 00000000B9F0: 7E0A4505
	v_rcp_f32_e32 v6, v6                                       // 00000000B9F4: 7E0C4506
	v_rcp_f32_e32 v7, v7                                       // 00000000B9F8: 7E0E4507
	v_mul_f32_e32 v104, v104, v4                               // 00000000B9FC: 0AD00968
	v_mul_f32_e32 v105, v105, v5                               // 00000000BA00: 0AD20B69
	v_mul_f32_e32 v106, v106, v6                               // 00000000BA04: 0AD40D6A
	v_mul_f32_e32 v107, v107, v7                               // 00000000BA08: 0AD60F6B
	v_mul_f32_e32 v104, v104, v152                             // 00000000BA0C: 0AD13168
	v_mul_f32_e32 v105, v105, v153                             // 00000000BA10: 0AD33369
	v_mul_f32_e32 v106, v106, v154                             // 00000000BA14: 0AD5356A
	v_mul_f32_e32 v107, v107, v155                             // 00000000BA18: 0AD7376B
	v_mul_f32_e64 v4, -v108, s6                                // 00000000BA1C: D1050004 20000D6C
	v_mul_f32_e64 v5, -v109, s6                                // 00000000BA24: D1050005 20000D6D
	v_mul_f32_e64 v6, -v110, s6                                // 00000000BA2C: D1050006 20000D6E
	v_mul_f32_e64 v7, -v111, s6                                // 00000000BA34: D1050007 20000D6F
	v_exp_f32_e32 v4, v4                                       // 00000000BA3C: 7E084104
	v_exp_f32_e32 v5, v5                                       // 00000000BA40: 7E0A4105
	v_exp_f32_e32 v6, v6                                       // 00000000BA44: 7E0C4106
	v_exp_f32_e32 v7, v7                                       // 00000000BA48: 7E0E4107
	v_add_f32_e64 v4, v4, 1.0                                  // 00000000BA4C: D1010004 0001E504
	v_add_f32_e64 v5, v5, 1.0                                  // 00000000BA54: D1010005 0001E505
	v_add_f32_e64 v6, v6, 1.0                                  // 00000000BA5C: D1010006 0001E506
	v_add_f32_e64 v7, v7, 1.0                                  // 00000000BA64: D1010007 0001E507
	v_rcp_f32_e32 v4, v4                                       // 00000000BA6C: 7E084504
	v_rcp_f32_e32 v5, v5                                       // 00000000BA70: 7E0A4505
	v_rcp_f32_e32 v6, v6                                       // 00000000BA74: 7E0C4506
	v_rcp_f32_e32 v7, v7                                       // 00000000BA78: 7E0E4507
	v_mul_f32_e32 v108, v108, v4                               // 00000000BA7C: 0AD8096C
	v_mul_f32_e32 v109, v109, v5                               // 00000000BA80: 0ADA0B6D
	v_mul_f32_e32 v110, v110, v6                               // 00000000BA84: 0ADC0D6E
	v_mul_f32_e32 v111, v111, v7                               // 00000000BA88: 0ADE0F6F
	v_mul_f32_e32 v108, v108, v156                             // 00000000BA8C: 0AD9396C
	v_mul_f32_e32 v109, v109, v157                             // 00000000BA90: 0ADB3B6D
	v_mul_f32_e32 v110, v110, v158                             // 00000000BA94: 0ADD3D6E
	v_mul_f32_e32 v111, v111, v159                             // 00000000BA98: 0ADF3F6F
	v_mul_f32_e64 v4, -v112, s6                                // 00000000BA9C: D1050004 20000D70
	v_mul_f32_e64 v5, -v113, s6                                // 00000000BAA4: D1050005 20000D71
	v_mul_f32_e64 v6, -v114, s6                                // 00000000BAAC: D1050006 20000D72
	v_mul_f32_e64 v7, -v115, s6                                // 00000000BAB4: D1050007 20000D73
	v_exp_f32_e32 v4, v4                                       // 00000000BABC: 7E084104
	v_exp_f32_e32 v5, v5                                       // 00000000BAC0: 7E0A4105
	v_exp_f32_e32 v6, v6                                       // 00000000BAC4: 7E0C4106
	v_exp_f32_e32 v7, v7                                       // 00000000BAC8: 7E0E4107
	v_add_f32_e64 v4, v4, 1.0                                  // 00000000BACC: D1010004 0001E504
	v_add_f32_e64 v5, v5, 1.0                                  // 00000000BAD4: D1010005 0001E505
	v_add_f32_e64 v6, v6, 1.0                                  // 00000000BADC: D1010006 0001E506
	v_add_f32_e64 v7, v7, 1.0                                  // 00000000BAE4: D1010007 0001E507
	v_rcp_f32_e32 v4, v4                                       // 00000000BAEC: 7E084504
	v_rcp_f32_e32 v5, v5                                       // 00000000BAF0: 7E0A4505
	v_rcp_f32_e32 v6, v6                                       // 00000000BAF4: 7E0C4506
	v_rcp_f32_e32 v7, v7                                       // 00000000BAF8: 7E0E4507
	v_mul_f32_e32 v112, v112, v4                               // 00000000BAFC: 0AE00970
	v_mul_f32_e32 v113, v113, v5                               // 00000000BB00: 0AE20B71
	v_mul_f32_e32 v114, v114, v6                               // 00000000BB04: 0AE40D72
	v_mul_f32_e32 v115, v115, v7                               // 00000000BB08: 0AE60F73
	v_mul_f32_e32 v112, v112, v160                             // 00000000BB0C: 0AE14170
	v_mul_f32_e32 v113, v113, v161                             // 00000000BB10: 0AE34371
	v_mul_f32_e32 v114, v114, v162                             // 00000000BB14: 0AE54572
	v_mul_f32_e32 v115, v115, v163                             // 00000000BB18: 0AE74773

000000000000bb1c <label_244A>:
	v_cmp_u_f32_e64 s[46:47], v68, v68                         // 00000000BB1C: D048002E 00028944
	v_add3_u32 v16, v68, v19, 1                                // 00000000BB24: D1FF0010 02062744
	v_cndmask_b32_e64 v4, v16, v18, s[46:47]                   // 00000000BB2C: D1000004 00BA2510
	v_cmp_u_f32_e64 s[46:47], v69, v69                         // 00000000BB34: D048002E 00028B45
	v_add3_u32 v16, v69, v19, 1                                // 00000000BB3C: D1FF0010 02062745
	v_cndmask_b32_e64 v5, v16, v18, s[46:47]                   // 00000000BB44: D1000005 00BA2510
	v_perm_b32 v68, v5, v4, s52                                // 00000000BB4C: D1ED0044 00D20905
	v_cmp_u_f32_e64 s[46:47], v70, v70                         // 00000000BB54: D048002E 00028D46
	v_add3_u32 v16, v70, v19, 1                                // 00000000BB5C: D1FF0010 02062746
	v_cndmask_b32_e64 v4, v16, v18, s[46:47]                   // 00000000BB64: D1000004 00BA2510
	v_cmp_u_f32_e64 s[46:47], v71, v71                         // 00000000BB6C: D048002E 00028F47
	v_add3_u32 v16, v71, v19, 1                                // 00000000BB74: D1FF0010 02062747
	v_cndmask_b32_e64 v5, v16, v18, s[46:47]                   // 00000000BB7C: D1000005 00BA2510
	v_perm_b32 v69, v5, v4, s52                                // 00000000BB84: D1ED0045 00D20905
	v_cmp_u_f32_e64 s[46:47], v72, v72                         // 00000000BB8C: D048002E 00029148
	v_add3_u32 v16, v72, v19, 1                                // 00000000BB94: D1FF0010 02062748
	v_cndmask_b32_e64 v4, v16, v18, s[46:47]                   // 00000000BB9C: D1000004 00BA2510
	v_cmp_u_f32_e64 s[46:47], v73, v73                         // 00000000BBA4: D048002E 00029349
	v_add3_u32 v16, v73, v19, 1                                // 00000000BBAC: D1FF0010 02062749
	v_cndmask_b32_e64 v5, v16, v18, s[46:47]                   // 00000000BBB4: D1000005 00BA2510
	v_perm_b32 v70, v5, v4, s52                                // 00000000BBBC: D1ED0046 00D20905
	v_cmp_u_f32_e64 s[46:47], v74, v74                         // 00000000BBC4: D048002E 0002954A
	v_add3_u32 v16, v74, v19, 1                                // 00000000BBCC: D1FF0010 0206274A
	v_cndmask_b32_e64 v4, v16, v18, s[46:47]                   // 00000000BBD4: D1000004 00BA2510
	v_cmp_u_f32_e64 s[46:47], v75, v75                         // 00000000BBDC: D048002E 0002974B
	v_add3_u32 v16, v75, v19, 1                                // 00000000BBE4: D1FF0010 0206274B
	v_cndmask_b32_e64 v5, v16, v18, s[46:47]                   // 00000000BBEC: D1000005 00BA2510
	v_perm_b32 v71, v5, v4, s52                                // 00000000BBF4: D1ED0047 00D20905
	v_cmp_u_f32_e64 s[46:47], v76, v76                         // 00000000BBFC: D048002E 0002994C
	v_add3_u32 v16, v76, v19, 1                                // 00000000BC04: D1FF0010 0206274C
	v_cndmask_b32_e64 v4, v16, v18, s[46:47]                   // 00000000BC0C: D1000004 00BA2510
	v_cmp_u_f32_e64 s[46:47], v77, v77                         // 00000000BC14: D048002E 00029B4D
	v_add3_u32 v16, v77, v19, 1                                // 00000000BC1C: D1FF0010 0206274D
	v_cndmask_b32_e64 v5, v16, v18, s[46:47]                   // 00000000BC24: D1000005 00BA2510
	v_perm_b32 v72, v5, v4, s52                                // 00000000BC2C: D1ED0048 00D20905
	v_cmp_u_f32_e64 s[46:47], v78, v78                         // 00000000BC34: D048002E 00029D4E
	v_add3_u32 v16, v78, v19, 1                                // 00000000BC3C: D1FF0010 0206274E
	v_cndmask_b32_e64 v4, v16, v18, s[46:47]                   // 00000000BC44: D1000004 00BA2510
	v_cmp_u_f32_e64 s[46:47], v79, v79                         // 00000000BC4C: D048002E 00029F4F
	v_add3_u32 v16, v79, v19, 1                                // 00000000BC54: D1FF0010 0206274F
	v_cndmask_b32_e64 v5, v16, v18, s[46:47]                   // 00000000BC5C: D1000005 00BA2510
	v_perm_b32 v73, v5, v4, s52                                // 00000000BC64: D1ED0049 00D20905
	v_cmp_u_f32_e64 s[46:47], v80, v80                         // 00000000BC6C: D048002E 0002A150
	v_add3_u32 v16, v80, v19, 1                                // 00000000BC74: D1FF0010 02062750
	v_cndmask_b32_e64 v4, v16, v18, s[46:47]                   // 00000000BC7C: D1000004 00BA2510
	v_cmp_u_f32_e64 s[46:47], v81, v81                         // 00000000BC84: D048002E 0002A351
	v_add3_u32 v16, v81, v19, 1                                // 00000000BC8C: D1FF0010 02062751
	v_cndmask_b32_e64 v5, v16, v18, s[46:47]                   // 00000000BC94: D1000005 00BA2510
	v_perm_b32 v74, v5, v4, s52                                // 00000000BC9C: D1ED004A 00D20905
	v_cmp_u_f32_e64 s[46:47], v82, v82                         // 00000000BCA4: D048002E 0002A552
	v_add3_u32 v16, v82, v19, 1                                // 00000000BCAC: D1FF0010 02062752
	v_cndmask_b32_e64 v4, v16, v18, s[46:47]                   // 00000000BCB4: D1000004 00BA2510
	v_cmp_u_f32_e64 s[46:47], v83, v83                         // 00000000BCBC: D048002E 0002A753
	v_add3_u32 v16, v83, v19, 1                                // 00000000BCC4: D1FF0010 02062753
	v_cndmask_b32_e64 v5, v16, v18, s[46:47]                   // 00000000BCCC: D1000005 00BA2510
	v_perm_b32 v75, v5, v4, s52                                // 00000000BCD4: D1ED004B 00D20905
	v_cmp_u_f32_e64 s[46:47], v84, v84                         // 00000000BCDC: D048002E 0002A954
	v_add3_u32 v16, v84, v19, 1                                // 00000000BCE4: D1FF0010 02062754
	v_cndmask_b32_e64 v4, v16, v18, s[46:47]                   // 00000000BCEC: D1000004 00BA2510
	v_cmp_u_f32_e64 s[46:47], v85, v85                         // 00000000BCF4: D048002E 0002AB55
	v_add3_u32 v16, v85, v19, 1                                // 00000000BCFC: D1FF0010 02062755
	v_cndmask_b32_e64 v5, v16, v18, s[46:47]                   // 00000000BD04: D1000005 00BA2510
	v_perm_b32 v76, v5, v4, s52                                // 00000000BD0C: D1ED004C 00D20905
	v_cmp_u_f32_e64 s[46:47], v86, v86                         // 00000000BD14: D048002E 0002AD56
	v_add3_u32 v16, v86, v19, 1                                // 00000000BD1C: D1FF0010 02062756
	v_cndmask_b32_e64 v4, v16, v18, s[46:47]                   // 00000000BD24: D1000004 00BA2510
	v_cmp_u_f32_e64 s[46:47], v87, v87                         // 00000000BD2C: D048002E 0002AF57
	v_add3_u32 v16, v87, v19, 1                                // 00000000BD34: D1FF0010 02062757
	v_cndmask_b32_e64 v5, v16, v18, s[46:47]                   // 00000000BD3C: D1000005 00BA2510
	v_perm_b32 v77, v5, v4, s52                                // 00000000BD44: D1ED004D 00D20905
	v_cmp_u_f32_e64 s[46:47], v88, v88                         // 00000000BD4C: D048002E 0002B158
	v_add3_u32 v16, v88, v19, 1                                // 00000000BD54: D1FF0010 02062758
	v_cndmask_b32_e64 v4, v16, v18, s[46:47]                   // 00000000BD5C: D1000004 00BA2510
	v_cmp_u_f32_e64 s[46:47], v89, v89                         // 00000000BD64: D048002E 0002B359
	v_add3_u32 v16, v89, v19, 1                                // 00000000BD6C: D1FF0010 02062759
	v_cndmask_b32_e64 v5, v16, v18, s[46:47]                   // 00000000BD74: D1000005 00BA2510
	v_perm_b32 v78, v5, v4, s52                                // 00000000BD7C: D1ED004E 00D20905
	v_cmp_u_f32_e64 s[46:47], v90, v90                         // 00000000BD84: D048002E 0002B55A
	v_add3_u32 v16, v90, v19, 1                                // 00000000BD8C: D1FF0010 0206275A
	v_cndmask_b32_e64 v4, v16, v18, s[46:47]                   // 00000000BD94: D1000004 00BA2510
	v_cmp_u_f32_e64 s[46:47], v91, v91                         // 00000000BD9C: D048002E 0002B75B
	v_add3_u32 v16, v91, v19, 1                                // 00000000BDA4: D1FF0010 0206275B
	v_cndmask_b32_e64 v5, v16, v18, s[46:47]                   // 00000000BDAC: D1000005 00BA2510
	v_perm_b32 v79, v5, v4, s52                                // 00000000BDB4: D1ED004F 00D20905
	v_cmp_u_f32_e64 s[46:47], v92, v92                         // 00000000BDBC: D048002E 0002B95C
	v_add3_u32 v16, v92, v19, 1                                // 00000000BDC4: D1FF0010 0206275C
	v_cndmask_b32_e64 v4, v16, v18, s[46:47]                   // 00000000BDCC: D1000004 00BA2510
	v_cmp_u_f32_e64 s[46:47], v93, v93                         // 00000000BDD4: D048002E 0002BB5D
	v_add3_u32 v16, v93, v19, 1                                // 00000000BDDC: D1FF0010 0206275D
	v_cndmask_b32_e64 v5, v16, v18, s[46:47]                   // 00000000BDE4: D1000005 00BA2510
	v_perm_b32 v80, v5, v4, s52                                // 00000000BDEC: D1ED0050 00D20905
	v_cmp_u_f32_e64 s[46:47], v94, v94                         // 00000000BDF4: D048002E 0002BD5E
	v_add3_u32 v16, v94, v19, 1                                // 00000000BDFC: D1FF0010 0206275E
	v_cndmask_b32_e64 v4, v16, v18, s[46:47]                   // 00000000BE04: D1000004 00BA2510
	v_cmp_u_f32_e64 s[46:47], v95, v95                         // 00000000BE0C: D048002E 0002BF5F
	v_add3_u32 v16, v95, v19, 1                                // 00000000BE14: D1FF0010 0206275F
	v_cndmask_b32_e64 v5, v16, v18, s[46:47]                   // 00000000BE1C: D1000005 00BA2510
	v_perm_b32 v81, v5, v4, s52                                // 00000000BE24: D1ED0051 00D20905
	v_cmp_u_f32_e64 s[46:47], v96, v96                         // 00000000BE2C: D048002E 0002C160
	v_add3_u32 v16, v96, v19, 1                                // 00000000BE34: D1FF0010 02062760
	v_cndmask_b32_e64 v4, v16, v18, s[46:47]                   // 00000000BE3C: D1000004 00BA2510
	v_cmp_u_f32_e64 s[46:47], v97, v97                         // 00000000BE44: D048002E 0002C361
	v_add3_u32 v16, v97, v19, 1                                // 00000000BE4C: D1FF0010 02062761
	v_cndmask_b32_e64 v5, v16, v18, s[46:47]                   // 00000000BE54: D1000005 00BA2510
	v_perm_b32 v82, v5, v4, s52                                // 00000000BE5C: D1ED0052 00D20905
	v_cmp_u_f32_e64 s[46:47], v98, v98                         // 00000000BE64: D048002E 0002C562
	v_add3_u32 v16, v98, v19, 1                                // 00000000BE6C: D1FF0010 02062762
	v_cndmask_b32_e64 v4, v16, v18, s[46:47]                   // 00000000BE74: D1000004 00BA2510
	v_cmp_u_f32_e64 s[46:47], v99, v99                         // 00000000BE7C: D048002E 0002C763
	v_add3_u32 v16, v99, v19, 1                                // 00000000BE84: D1FF0010 02062763
	v_cndmask_b32_e64 v5, v16, v18, s[46:47]                   // 00000000BE8C: D1000005 00BA2510
	v_perm_b32 v83, v5, v4, s52                                // 00000000BE94: D1ED0053 00D20905
	v_cmp_u_f32_e64 s[46:47], v100, v100                       // 00000000BE9C: D048002E 0002C964
	v_add3_u32 v16, v100, v19, 1                               // 00000000BEA4: D1FF0010 02062764
	v_cndmask_b32_e64 v4, v16, v18, s[46:47]                   // 00000000BEAC: D1000004 00BA2510
	v_cmp_u_f32_e64 s[46:47], v101, v101                       // 00000000BEB4: D048002E 0002CB65
	v_add3_u32 v16, v101, v19, 1                               // 00000000BEBC: D1FF0010 02062765
	v_cndmask_b32_e64 v5, v16, v18, s[46:47]                   // 00000000BEC4: D1000005 00BA2510
	v_perm_b32 v84, v5, v4, s52                                // 00000000BECC: D1ED0054 00D20905
	v_cmp_u_f32_e64 s[46:47], v102, v102                       // 00000000BED4: D048002E 0002CD66
	v_add3_u32 v16, v102, v19, 1                               // 00000000BEDC: D1FF0010 02062766
	v_cndmask_b32_e64 v4, v16, v18, s[46:47]                   // 00000000BEE4: D1000004 00BA2510
	v_cmp_u_f32_e64 s[46:47], v103, v103                       // 00000000BEEC: D048002E 0002CF67
	v_add3_u32 v16, v103, v19, 1                               // 00000000BEF4: D1FF0010 02062767
	v_cndmask_b32_e64 v5, v16, v18, s[46:47]                   // 00000000BEFC: D1000005 00BA2510
	v_perm_b32 v85, v5, v4, s52                                // 00000000BF04: D1ED0055 00D20905
	v_cmp_u_f32_e64 s[46:47], v104, v104                       // 00000000BF0C: D048002E 0002D168
	v_add3_u32 v16, v104, v19, 1                               // 00000000BF14: D1FF0010 02062768
	v_cndmask_b32_e64 v4, v16, v18, s[46:47]                   // 00000000BF1C: D1000004 00BA2510
	v_cmp_u_f32_e64 s[46:47], v105, v105                       // 00000000BF24: D048002E 0002D369
	v_add3_u32 v16, v105, v19, 1                               // 00000000BF2C: D1FF0010 02062769
	v_cndmask_b32_e64 v5, v16, v18, s[46:47]                   // 00000000BF34: D1000005 00BA2510
	v_perm_b32 v86, v5, v4, s52                                // 00000000BF3C: D1ED0056 00D20905
	v_cmp_u_f32_e64 s[46:47], v106, v106                       // 00000000BF44: D048002E 0002D56A
	v_add3_u32 v16, v106, v19, 1                               // 00000000BF4C: D1FF0010 0206276A
	v_cndmask_b32_e64 v4, v16, v18, s[46:47]                   // 00000000BF54: D1000004 00BA2510
	v_cmp_u_f32_e64 s[46:47], v107, v107                       // 00000000BF5C: D048002E 0002D76B
	v_add3_u32 v16, v107, v19, 1                               // 00000000BF64: D1FF0010 0206276B
	v_cndmask_b32_e64 v5, v16, v18, s[46:47]                   // 00000000BF6C: D1000005 00BA2510
	v_perm_b32 v87, v5, v4, s52                                // 00000000BF74: D1ED0057 00D20905
	v_cmp_u_f32_e64 s[46:47], v108, v108                       // 00000000BF7C: D048002E 0002D96C
	v_add3_u32 v16, v108, v19, 1                               // 00000000BF84: D1FF0010 0206276C
	v_cndmask_b32_e64 v4, v16, v18, s[46:47]                   // 00000000BF8C: D1000004 00BA2510
	v_cmp_u_f32_e64 s[46:47], v109, v109                       // 00000000BF94: D048002E 0002DB6D
	v_add3_u32 v16, v109, v19, 1                               // 00000000BF9C: D1FF0010 0206276D
	v_cndmask_b32_e64 v5, v16, v18, s[46:47]                   // 00000000BFA4: D1000005 00BA2510
	v_perm_b32 v88, v5, v4, s52                                // 00000000BFAC: D1ED0058 00D20905
	v_cmp_u_f32_e64 s[46:47], v110, v110                       // 00000000BFB4: D048002E 0002DD6E
	v_add3_u32 v16, v110, v19, 1                               // 00000000BFBC: D1FF0010 0206276E
	v_cndmask_b32_e64 v4, v16, v18, s[46:47]                   // 00000000BFC4: D1000004 00BA2510
	v_cmp_u_f32_e64 s[46:47], v111, v111                       // 00000000BFCC: D048002E 0002DF6F
	v_add3_u32 v16, v111, v19, 1                               // 00000000BFD4: D1FF0010 0206276F
	v_cndmask_b32_e64 v5, v16, v18, s[46:47]                   // 00000000BFDC: D1000005 00BA2510
	v_perm_b32 v89, v5, v4, s52                                // 00000000BFE4: D1ED0059 00D20905
	v_cmp_u_f32_e64 s[46:47], v112, v112                       // 00000000BFEC: D048002E 0002E170
	v_add3_u32 v16, v112, v19, 1                               // 00000000BFF4: D1FF0010 02062770
	v_cndmask_b32_e64 v4, v16, v18, s[46:47]                   // 00000000BFFC: D1000004 00BA2510
	v_cmp_u_f32_e64 s[46:47], v113, v113                       // 00000000C004: D048002E 0002E371
	v_add3_u32 v16, v113, v19, 1                               // 00000000C00C: D1FF0010 02062771
	v_cndmask_b32_e64 v5, v16, v18, s[46:47]                   // 00000000C014: D1000005 00BA2510
	v_perm_b32 v90, v5, v4, s52                                // 00000000C01C: D1ED005A 00D20905
	v_cmp_u_f32_e64 s[46:47], v114, v114                       // 00000000C024: D048002E 0002E572
	v_add3_u32 v16, v114, v19, 1                               // 00000000C02C: D1FF0010 02062772
	v_cndmask_b32_e64 v4, v16, v18, s[46:47]                   // 00000000C034: D1000004 00BA2510
	v_cmp_u_f32_e64 s[46:47], v115, v115                       // 00000000C03C: D048002E 0002E773
	v_add3_u32 v16, v115, v19, 1                               // 00000000C044: D1FF0010 02062773
	v_cndmask_b32_e64 v5, v16, v18, s[46:47]                   // 00000000C04C: D1000005 00BA2510
	v_perm_b32 v91, v5, v4, s52                                // 00000000C054: D1ED005B 00D20905
	ds_write_b64 v20, v[68:69]                                 // 00000000C05C: D89A0000 00004414
	ds_write_b64 v20, v[70:71] offset:4352                     // 00000000C064: D89A1100 00004614
	ds_write_b64 v20, v[72:73] offset:8704                     // 00000000C06C: D89A2200 00004814
	ds_write_b64 v20, v[74:75] offset:13056                    // 00000000C074: D89A3300 00004A14
	ds_write_b64 v20, v[76:77] offset:17408                    // 00000000C07C: D89A4400 00004C14
	ds_write_b64 v20, v[78:79] offset:21760                    // 00000000C084: D89A5500 00004E14
	ds_write_b64 v20, v[80:81] offset:2176                     // 00000000C08C: D89A0880 00005014
	ds_write_b64 v20, v[82:83] offset:6528                     // 00000000C094: D89A1980 00005214
	ds_write_b64 v20, v[84:85] offset:10880                    // 00000000C09C: D89A2A80 00005414
	ds_write_b64 v20, v[86:87] offset:15232                    // 00000000C0A4: D89A3B80 00005614
	ds_write_b64 v20, v[88:89] offset:19584                    // 00000000C0AC: D89A4C80 00005814
	ds_write_b64 v20, v[90:91] offset:23936                    // 00000000C0B4: D89A5D80 00005A14
	v_lshrrev_b32_e32 v4, 5, v0                                // 00000000C0BC: 20080085
	v_xor_b32_e32 v5, 1, v4                                    // 00000000C0C0: 2A0A0881
	s_mul_i32 s60, s65, 2                                      // 00000000C0C4: 923C8241
	s_cmp_eq_u32 s88, 0                                        // 00000000C0C8: BF068058
	s_cselect_b32 s61, 1, 4                                    // 00000000C0CC: 853D8481
	s_mul_i32 s60, s61, s60                                    // 00000000C0D0: 923C3C3D
	v_readlane_b32 s82, v3, 0                                  // 00000000C0D4: D2890052 00010103
	s_lshr_b32 s61, s82, 24                                    // 00000000C0DC: 8F3D9852
	s_and_b32 s82, s82, 0xffffff                               // 00000000C0E0: 8652FF52 00FFFFFF
	s_mul_i32 s82, s82, s71                                    // 00000000C0E8: 92524752
	s_mul_i32 s61, s60, s61                                    // 00000000C0EC: 923D3D3C
	s_add_u32 s82, s82, s61                                    // 00000000C0F0: 80523D52
	v_mul_lo_u32 v6, v5, s82                                   // 00000000C0F4: D2850006 0000A505
	v_readlane_b32 s82, v3, 1                                  // 00000000C0FC: D2890052 00010303
	s_lshr_b32 s61, s82, 24                                    // 00000000C104: 8F3D9852
	s_and_b32 s82, s82, 0xffffff                               // 00000000C108: 8652FF52 00FFFFFF
	s_mul_i32 s82, s82, s71                                    // 00000000C110: 92524752
	s_mul_i32 s61, s60, s61                                    // 00000000C114: 923D3D3C
	s_add_u32 s82, s82, s61                                    // 00000000C118: 80523D52
	v_mul_lo_u32 v7, v4, s82                                   // 00000000C11C: D2850007 0000A504
	v_add_u32_e32 v54, v6, v7                                  // 00000000C124: 686C0F06
	v_readlane_b32 s82, v3, 2                                  // 00000000C128: D2890052 00010503
	s_lshr_b32 s61, s82, 24                                    // 00000000C130: 8F3D9852
	s_and_b32 s82, s82, 0xffffff                               // 00000000C134: 8652FF52 00FFFFFF
	s_mul_i32 s82, s82, s71                                    // 00000000C13C: 92524752
	s_mul_i32 s61, s60, s61                                    // 00000000C140: 923D3D3C
	s_add_u32 s82, s82, s61                                    // 00000000C144: 80523D52
	v_mul_lo_u32 v6, v5, s82                                   // 00000000C148: D2850006 0000A505
	v_readlane_b32 s82, v3, 3                                  // 00000000C150: D2890052 00010703
	s_lshr_b32 s61, s82, 24                                    // 00000000C158: 8F3D9852
	s_and_b32 s82, s82, 0xffffff                               // 00000000C15C: 8652FF52 00FFFFFF
	s_mul_i32 s82, s82, s71                                    // 00000000C164: 92524752
	s_mul_i32 s61, s60, s61                                    // 00000000C168: 923D3D3C
	s_add_u32 s82, s82, s61                                    // 00000000C16C: 80523D52
	v_mul_lo_u32 v7, v4, s82                                   // 00000000C170: D2850007 0000A504
	v_add_u32_e32 v55, v6, v7                                  // 00000000C178: 686E0F06
	v_readlane_b32 s82, v3, 4                                  // 00000000C17C: D2890052 00010903
	s_lshr_b32 s61, s82, 24                                    // 00000000C184: 8F3D9852
	s_and_b32 s82, s82, 0xffffff                               // 00000000C188: 8652FF52 00FFFFFF
	s_mul_i32 s82, s82, s71                                    // 00000000C190: 92524752
	s_mul_i32 s61, s60, s61                                    // 00000000C194: 923D3D3C
	s_add_u32 s82, s82, s61                                    // 00000000C198: 80523D52
	v_mul_lo_u32 v6, v5, s82                                   // 00000000C19C: D2850006 0000A505
	v_readlane_b32 s82, v3, 5                                  // 00000000C1A4: D2890052 00010B03
	s_lshr_b32 s61, s82, 24                                    // 00000000C1AC: 8F3D9852
	s_and_b32 s82, s82, 0xffffff                               // 00000000C1B0: 8652FF52 00FFFFFF
	s_mul_i32 s82, s82, s71                                    // 00000000C1B8: 92524752
	s_mul_i32 s61, s60, s61                                    // 00000000C1BC: 923D3D3C
	s_add_u32 s82, s82, s61                                    // 00000000C1C0: 80523D52
	v_mul_lo_u32 v7, v4, s82                                   // 00000000C1C4: D2850007 0000A504
	v_add_u32_e32 v56, v6, v7                                  // 00000000C1CC: 68700F06
	v_readlane_b32 s82, v3, 6                                  // 00000000C1D0: D2890052 00010D03
	s_lshr_b32 s61, s82, 24                                    // 00000000C1D8: 8F3D9852
	s_and_b32 s82, s82, 0xffffff                               // 00000000C1DC: 8652FF52 00FFFFFF
	s_mul_i32 s82, s82, s71                                    // 00000000C1E4: 92524752
	s_mul_i32 s61, s60, s61                                    // 00000000C1E8: 923D3D3C
	s_add_u32 s82, s82, s61                                    // 00000000C1EC: 80523D52
	v_mul_lo_u32 v6, v5, s82                                   // 00000000C1F0: D2850006 0000A505
	v_readlane_b32 s82, v3, 7                                  // 00000000C1F8: D2890052 00010F03
	s_lshr_b32 s61, s82, 24                                    // 00000000C200: 8F3D9852
	s_and_b32 s82, s82, 0xffffff                               // 00000000C204: 8652FF52 00FFFFFF
	s_mul_i32 s82, s82, s71                                    // 00000000C20C: 92524752
	s_mul_i32 s61, s60, s61                                    // 00000000C210: 923D3D3C
	s_add_u32 s82, s82, s61                                    // 00000000C214: 80523D52
	v_mul_lo_u32 v7, v4, s82                                   // 00000000C218: D2850007 0000A504
	v_add_u32_e32 v57, v6, v7                                  // 00000000C220: 68720F06
	v_readlane_b32 s82, v3, 8                                  // 00000000C224: D2890052 00011103
	s_lshr_b32 s61, s82, 24                                    // 00000000C22C: 8F3D9852
	s_and_b32 s82, s82, 0xffffff                               // 00000000C230: 8652FF52 00FFFFFF
	s_mul_i32 s82, s82, s71                                    // 00000000C238: 92524752
	s_mul_i32 s61, s60, s61                                    // 00000000C23C: 923D3D3C
	s_add_u32 s82, s82, s61                                    // 00000000C240: 80523D52
	v_mul_lo_u32 v6, v5, s82                                   // 00000000C244: D2850006 0000A505
	v_readlane_b32 s82, v3, 9                                  // 00000000C24C: D2890052 00011303
	s_lshr_b32 s61, s82, 24                                    // 00000000C254: 8F3D9852
	s_and_b32 s82, s82, 0xffffff                               // 00000000C258: 8652FF52 00FFFFFF
	s_mul_i32 s82, s82, s71                                    // 00000000C260: 92524752
	s_mul_i32 s61, s60, s61                                    // 00000000C264: 923D3D3C
	s_add_u32 s82, s82, s61                                    // 00000000C268: 80523D52
	v_mul_lo_u32 v7, v4, s82                                   // 00000000C26C: D2850007 0000A504
	v_add_u32_e32 v58, v6, v7                                  // 00000000C274: 68740F06
	v_readlane_b32 s82, v3, 10                                 // 00000000C278: D2890052 00011503
	s_lshr_b32 s61, s82, 24                                    // 00000000C280: 8F3D9852
	s_and_b32 s82, s82, 0xffffff                               // 00000000C284: 8652FF52 00FFFFFF
	s_mul_i32 s82, s82, s71                                    // 00000000C28C: 92524752
	s_mul_i32 s61, s60, s61                                    // 00000000C290: 923D3D3C
	s_add_u32 s82, s82, s61                                    // 00000000C294: 80523D52
	v_mul_lo_u32 v6, v5, s82                                   // 00000000C298: D2850006 0000A505
	v_readlane_b32 s82, v3, 11                                 // 00000000C2A0: D2890052 00011703
	s_lshr_b32 s61, s82, 24                                    // 00000000C2A8: 8F3D9852
	s_and_b32 s82, s82, 0xffffff                               // 00000000C2AC: 8652FF52 00FFFFFF
	s_mul_i32 s82, s82, s71                                    // 00000000C2B4: 92524752
	s_mul_i32 s61, s60, s61                                    // 00000000C2B8: 923D3D3C
	s_add_u32 s82, s82, s61                                    // 00000000C2BC: 80523D52
	v_mul_lo_u32 v7, v4, s82                                   // 00000000C2C0: D2850007 0000A504
	v_add_u32_e32 v59, v6, v7                                  // 00000000C2C8: 68760F06
	v_readlane_b32 s82, v3, 12                                 // 00000000C2CC: D2890052 00011903
	s_lshr_b32 s61, s82, 24                                    // 00000000C2D4: 8F3D9852
	s_and_b32 s82, s82, 0xffffff                               // 00000000C2D8: 8652FF52 00FFFFFF
	s_mul_i32 s82, s82, s71                                    // 00000000C2E0: 92524752
	s_mul_i32 s61, s60, s61                                    // 00000000C2E4: 923D3D3C
	s_add_u32 s82, s82, s61                                    // 00000000C2E8: 80523D52
	v_mul_lo_u32 v6, v5, s82                                   // 00000000C2EC: D2850006 0000A505
	v_readlane_b32 s82, v3, 13                                 // 00000000C2F4: D2890052 00011B03
	s_lshr_b32 s61, s82, 24                                    // 00000000C2FC: 8F3D9852
	s_and_b32 s82, s82, 0xffffff                               // 00000000C300: 8652FF52 00FFFFFF
	s_mul_i32 s82, s82, s71                                    // 00000000C308: 92524752
	s_mul_i32 s61, s60, s61                                    // 00000000C30C: 923D3D3C
	s_add_u32 s82, s82, s61                                    // 00000000C310: 80523D52
	v_mul_lo_u32 v7, v4, s82                                   // 00000000C314: D2850007 0000A504
	v_add_u32_e32 v60, v6, v7                                  // 00000000C31C: 68780F06
	v_readlane_b32 s82, v3, 14                                 // 00000000C320: D2890052 00011D03
	s_lshr_b32 s61, s82, 24                                    // 00000000C328: 8F3D9852
	s_and_b32 s82, s82, 0xffffff                               // 00000000C32C: 8652FF52 00FFFFFF
	s_mul_i32 s82, s82, s71                                    // 00000000C334: 92524752
	s_mul_i32 s61, s60, s61                                    // 00000000C338: 923D3D3C
	s_add_u32 s82, s82, s61                                    // 00000000C33C: 80523D52
	v_mul_lo_u32 v6, v5, s82                                   // 00000000C340: D2850006 0000A505
	v_readlane_b32 s82, v3, 15                                 // 00000000C348: D2890052 00011F03
	s_lshr_b32 s61, s82, 24                                    // 00000000C350: 8F3D9852
	s_and_b32 s82, s82, 0xffffff                               // 00000000C354: 8652FF52 00FFFFFF
	s_mul_i32 s82, s82, s71                                    // 00000000C35C: 92524752
	s_mul_i32 s61, s60, s61                                    // 00000000C360: 923D3D3C
	s_add_u32 s82, s82, s61                                    // 00000000C364: 80523D52
	v_mul_lo_u32 v7, v4, s82                                   // 00000000C368: D2850007 0000A504
	v_add_u32_e32 v61, v6, v7                                  // 00000000C370: 687A0F06
	v_readlane_b32 s82, v3, 16                                 // 00000000C374: D2890052 00012103
	s_lshr_b32 s61, s82, 24                                    // 00000000C37C: 8F3D9852
	s_and_b32 s82, s82, 0xffffff                               // 00000000C380: 8652FF52 00FFFFFF
	s_mul_i32 s82, s82, s71                                    // 00000000C388: 92524752
	s_mul_i32 s61, s60, s61                                    // 00000000C38C: 923D3D3C
	s_add_u32 s82, s82, s61                                    // 00000000C390: 80523D52
	v_mul_lo_u32 v6, v5, s82                                   // 00000000C394: D2850006 0000A505
	v_readlane_b32 s82, v3, 17                                 // 00000000C39C: D2890052 00012303
	s_lshr_b32 s61, s82, 24                                    // 00000000C3A4: 8F3D9852
	s_and_b32 s82, s82, 0xffffff                               // 00000000C3A8: 8652FF52 00FFFFFF
	s_mul_i32 s82, s82, s71                                    // 00000000C3B0: 92524752
	s_mul_i32 s61, s60, s61                                    // 00000000C3B4: 923D3D3C
	s_add_u32 s82, s82, s61                                    // 00000000C3B8: 80523D52
	v_mul_lo_u32 v7, v4, s82                                   // 00000000C3BC: D2850007 0000A504
	v_add_u32_e32 v62, v6, v7                                  // 00000000C3C4: 687C0F06
	v_readlane_b32 s82, v3, 18                                 // 00000000C3C8: D2890052 00012503
	s_lshr_b32 s61, s82, 24                                    // 00000000C3D0: 8F3D9852
	s_and_b32 s82, s82, 0xffffff                               // 00000000C3D4: 8652FF52 00FFFFFF
	s_mul_i32 s82, s82, s71                                    // 00000000C3DC: 92524752
	s_mul_i32 s61, s60, s61                                    // 00000000C3E0: 923D3D3C
	s_add_u32 s82, s82, s61                                    // 00000000C3E4: 80523D52
	v_mul_lo_u32 v6, v5, s82                                   // 00000000C3E8: D2850006 0000A505
	v_readlane_b32 s82, v3, 19                                 // 00000000C3F0: D2890052 00012703
	s_lshr_b32 s61, s82, 24                                    // 00000000C3F8: 8F3D9852
	s_and_b32 s82, s82, 0xffffff                               // 00000000C3FC: 8652FF52 00FFFFFF
	s_mul_i32 s82, s82, s71                                    // 00000000C404: 92524752
	s_mul_i32 s61, s60, s61                                    // 00000000C408: 923D3D3C
	s_add_u32 s82, s82, s61                                    // 00000000C40C: 80523D52
	v_mul_lo_u32 v7, v4, s82                                   // 00000000C410: D2850007 0000A504
	v_add_u32_e32 v63, v6, v7                                  // 00000000C418: 687E0F06
	v_readlane_b32 s82, v3, 20                                 // 00000000C41C: D2890052 00012903
	s_lshr_b32 s61, s82, 24                                    // 00000000C424: 8F3D9852
	s_and_b32 s82, s82, 0xffffff                               // 00000000C428: 8652FF52 00FFFFFF
	s_mul_i32 s82, s82, s71                                    // 00000000C430: 92524752
	s_mul_i32 s61, s60, s61                                    // 00000000C434: 923D3D3C
	s_add_u32 s82, s82, s61                                    // 00000000C438: 80523D52
	v_mul_lo_u32 v6, v5, s82                                   // 00000000C43C: D2850006 0000A505
	v_readlane_b32 s82, v3, 21                                 // 00000000C444: D2890052 00012B03
	s_lshr_b32 s61, s82, 24                                    // 00000000C44C: 8F3D9852
	s_and_b32 s82, s82, 0xffffff                               // 00000000C450: 8652FF52 00FFFFFF
	s_mul_i32 s82, s82, s71                                    // 00000000C458: 92524752
	s_mul_i32 s61, s60, s61                                    // 00000000C45C: 923D3D3C
	s_add_u32 s82, s82, s61                                    // 00000000C460: 80523D52
	v_mul_lo_u32 v7, v4, s82                                   // 00000000C464: D2850007 0000A504
	v_add_u32_e32 v64, v6, v7                                  // 00000000C46C: 68800F06
	v_readlane_b32 s82, v3, 22                                 // 00000000C470: D2890052 00012D03
	s_lshr_b32 s61, s82, 24                                    // 00000000C478: 8F3D9852
	s_and_b32 s82, s82, 0xffffff                               // 00000000C47C: 8652FF52 00FFFFFF
	s_mul_i32 s82, s82, s71                                    // 00000000C484: 92524752
	s_mul_i32 s61, s60, s61                                    // 00000000C488: 923D3D3C
	s_add_u32 s82, s82, s61                                    // 00000000C48C: 80523D52
	v_mul_lo_u32 v6, v5, s82                                   // 00000000C490: D2850006 0000A505
	v_readlane_b32 s82, v3, 23                                 // 00000000C498: D2890052 00012F03
	s_lshr_b32 s61, s82, 24                                    // 00000000C4A0: 8F3D9852
	s_and_b32 s82, s82, 0xffffff                               // 00000000C4A4: 8652FF52 00FFFFFF
	s_mul_i32 s82, s82, s71                                    // 00000000C4AC: 92524752
	s_mul_i32 s61, s60, s61                                    // 00000000C4B0: 923D3D3C
	s_add_u32 s82, s82, s61                                    // 00000000C4B4: 80523D52
	v_mul_lo_u32 v7, v4, s82                                   // 00000000C4B8: D2850007 0000A504
	v_add_u32_e32 v65, v6, v7                                  // 00000000C4C0: 68820F06
	v_and_b32_e32 v4, 31, v0                                   // 00000000C4C4: 2608009F
	v_lshrrev_b32_e32 v4, 1, v4                                // 00000000C4C8: 20080881
	s_cmp_eq_u32 s88, 0                                        // 00000000C4CC: BF068058
	s_cselect_b32 s61, 2, 4                                    // 00000000C4D0: 853D8482
	v_mul_lo_u32 v4, v4, s61                                   // 00000000C4D4: D2850004 00007B04
	v_and_b32_e64 v5, v0, 1                                    // 00000000C4DC: D1130005 00010300
	v_add_u32_e32 v4, v4, v5                                   // 00000000C4E4: 68080B04
	v_lshlrev_b32_e32 v4, 2, v4                                // 00000000C4E8: 24080882
	v_add_u32_e32 v54, v54, v4                                 // 00000000C4EC: 686C0936
	v_add_u32_e32 v55, v55, v4                                 // 00000000C4F0: 686E0937
	v_add_u32_e32 v56, v56, v4                                 // 00000000C4F4: 68700938
	v_add_u32_e32 v57, v57, v4                                 // 00000000C4F8: 68720939
	v_add_u32_e32 v58, v58, v4                                 // 00000000C4FC: 6874093A
	v_add_u32_e32 v59, v59, v4                                 // 00000000C500: 6876093B
	v_add_u32_e32 v60, v60, v4                                 // 00000000C504: 6878093C
	v_add_u32_e32 v61, v61, v4                                 // 00000000C508: 687A093D
	v_add_u32_e32 v62, v62, v4                                 // 00000000C50C: 687C093E
	v_add_u32_e32 v63, v63, v4                                 // 00000000C510: 687E093F
	v_add_u32_e32 v64, v64, v4                                 // 00000000C514: 68800940
	v_add_u32_e32 v65, v65, v4                                 // 00000000C518: 68820941
	s_waitcnt lgkmcnt(0)                                       // 00000000C51C: BF8CC07F
	s_barrier                                                  // 00000000C520: BF8A0000
	ds_read_b32 v68, v21                                       // 00000000C524: D86C0000 44000015
	ds_read_b32 v69, v21 offset:64                             // 00000000C52C: D86C0040 45000015
	ds_read_b32 v70, v21 offset:2176                           // 00000000C534: D86C0880 46000015
	ds_read_b32 v71, v21 offset:2240                           // 00000000C53C: D86C08C0 47000015
	ds_read_b32 v72, v21 offset:4352                           // 00000000C544: D86C1100 48000015
	ds_read_b32 v73, v21 offset:4416                           // 00000000C54C: D86C1140 49000015
	ds_read_b32 v74, v21 offset:6528                           // 00000000C554: D86C1980 4A000015
	ds_read_b32 v75, v21 offset:6592                           // 00000000C55C: D86C19C0 4B000015
	ds_read_b32 v76, v21 offset:8704                           // 00000000C564: D86C2200 4C000015
	ds_read_b32 v77, v21 offset:8768                           // 00000000C56C: D86C2240 4D000015
	ds_read_b32 v78, v21 offset:10880                          // 00000000C574: D86C2A80 4E000015
	ds_read_b32 v79, v21 offset:10944                          // 00000000C57C: D86C2AC0 4F000015
	ds_read_b32 v80, v21 offset:13056                          // 00000000C584: D86C3300 50000015
	ds_read_b32 v81, v21 offset:13120                          // 00000000C58C: D86C3340 51000015
	ds_read_b32 v82, v21 offset:15232                          // 00000000C594: D86C3B80 52000015
	ds_read_b32 v83, v21 offset:15296                          // 00000000C59C: D86C3BC0 53000015
	ds_read_b32 v84, v21 offset:17408                          // 00000000C5A4: D86C4400 54000015
	ds_read_b32 v85, v21 offset:17472                          // 00000000C5AC: D86C4440 55000015
	ds_read_b32 v86, v21 offset:19584                          // 00000000C5B4: D86C4C80 56000015
	ds_read_b32 v87, v21 offset:19648                          // 00000000C5BC: D86C4CC0 57000015
	ds_read_b32 v88, v21 offset:21760                          // 00000000C5C4: D86C5500 58000015
	ds_read_b32 v89, v21 offset:21824                          // 00000000C5CC: D86C5540 59000015
	ds_read_b32 v90, v21 offset:23936                          // 00000000C5D4: D86C5D80 5A000015
	ds_read_b32 v91, v21 offset:24000                          // 00000000C5DC: D86C5DC0 5B000015
	s_waitcnt lgkmcnt(0)                                       // 00000000C5E4: BF8CC07F
	s_mov_b32 s36, -1                                          // 00000000C5E8: BEA400C1
	s_mov_b32 s37, -1                                          // 00000000C5EC: BEA500C1
	v_mov_b32_e32 v7, 0                                        // 00000000C5F0: 7E0E0280
	s_or_b32 s9, s9, 0x40000                                   // 00000000C5F4: 8709FF09 00040000
	s_mov_b64 exec, s[36:37]                                   // 00000000C5FC: BEFE0124
	v_mov_b32_e32 v6, v54                                      // 00000000C600: 7E0C0336
	s_mov_b64 s[60:61], 0                                      // 00000000C604: BEBC0180
	v_readlane_b32 s82, v3, 0                                  // 00000000C608: D2890052 00010103
	s_and_b32 s82, s82, 0xffffff                               // 00000000C610: 8652FF52 00FFFFFF
	s_cmp_lt_u32 s82, s66                                      // 00000000C618: BF0A4252
	s_cselect_b32 s20, s36, s60                                // 00000000C61C: 85143C24
	v_readlane_b32 s82, v3, 1                                  // 00000000C620: D2890052 00010303
	s_and_b32 s82, s82, 0xffffff                               // 00000000C628: 8652FF52 00FFFFFF
	s_cmp_lt_u32 s82, s66                                      // 00000000C630: BF0A4252
	s_cselect_b32 s21, s36, s60                                // 00000000C634: 85153C24
	s_mov_b64 exec, s[20:21]                                   // 00000000C638: BEFE0114
	buffer_store_dword v68, v6, s[8:11], 0 offen               // 00000000C63C: E0701000 80024406
	buffer_store_dword v70, v6, s[8:11], 0 offen offset:128    // 00000000C644: E0701080 80024606
	s_mov_b64 exec, s[36:37]                                   // 00000000C64C: BEFE0124
	v_mov_b32_e32 v6, v55                                      // 00000000C650: 7E0C0337
	s_mov_b64 s[60:61], 0                                      // 00000000C654: BEBC0180
	v_readlane_b32 s82, v3, 2                                  // 00000000C658: D2890052 00010503
	s_and_b32 s82, s82, 0xffffff                               // 00000000C660: 8652FF52 00FFFFFF
	s_cmp_lt_u32 s82, s66                                      // 00000000C668: BF0A4252
	s_cselect_b32 s20, s36, s60                                // 00000000C66C: 85143C24
	v_readlane_b32 s82, v3, 3                                  // 00000000C670: D2890052 00010703
	s_and_b32 s82, s82, 0xffffff                               // 00000000C678: 8652FF52 00FFFFFF
	s_cmp_lt_u32 s82, s66                                      // 00000000C680: BF0A4252
	s_cselect_b32 s21, s36, s60                                // 00000000C684: 85153C24
	s_mov_b64 exec, s[20:21]                                   // 00000000C688: BEFE0114
	buffer_store_dword v69, v6, s[8:11], 0 offen               // 00000000C68C: E0701000 80024506
	buffer_store_dword v71, v6, s[8:11], 0 offen offset:128    // 00000000C694: E0701080 80024706
	s_mov_b64 exec, s[36:37]                                   // 00000000C69C: BEFE0124
	v_mov_b32_e32 v6, v56                                      // 00000000C6A0: 7E0C0338
	s_mov_b64 s[60:61], 0                                      // 00000000C6A4: BEBC0180
	v_readlane_b32 s82, v3, 4                                  // 00000000C6A8: D2890052 00010903
	s_and_b32 s82, s82, 0xffffff                               // 00000000C6B0: 8652FF52 00FFFFFF
	s_cmp_lt_u32 s82, s66                                      // 00000000C6B8: BF0A4252
	s_cselect_b32 s20, s36, s60                                // 00000000C6BC: 85143C24
	v_readlane_b32 s82, v3, 5                                  // 00000000C6C0: D2890052 00010B03
	s_and_b32 s82, s82, 0xffffff                               // 00000000C6C8: 8652FF52 00FFFFFF
	s_cmp_lt_u32 s82, s66                                      // 00000000C6D0: BF0A4252
	s_cselect_b32 s21, s36, s60                                // 00000000C6D4: 85153C24
	s_mov_b64 exec, s[20:21]                                   // 00000000C6D8: BEFE0114
	buffer_store_dword v72, v6, s[8:11], 0 offen               // 00000000C6DC: E0701000 80024806
	buffer_store_dword v74, v6, s[8:11], 0 offen offset:128    // 00000000C6E4: E0701080 80024A06
	s_mov_b64 exec, s[36:37]                                   // 00000000C6EC: BEFE0124
	v_mov_b32_e32 v6, v57                                      // 00000000C6F0: 7E0C0339
	s_mov_b64 s[60:61], 0                                      // 00000000C6F4: BEBC0180
	v_readlane_b32 s82, v3, 6                                  // 00000000C6F8: D2890052 00010D03
	s_and_b32 s82, s82, 0xffffff                               // 00000000C700: 8652FF52 00FFFFFF
	s_cmp_lt_u32 s82, s66                                      // 00000000C708: BF0A4252
	s_cselect_b32 s20, s36, s60                                // 00000000C70C: 85143C24
	v_readlane_b32 s82, v3, 7                                  // 00000000C710: D2890052 00010F03
	s_and_b32 s82, s82, 0xffffff                               // 00000000C718: 8652FF52 00FFFFFF
	s_cmp_lt_u32 s82, s66                                      // 00000000C720: BF0A4252
	s_cselect_b32 s21, s36, s60                                // 00000000C724: 85153C24
	s_mov_b64 exec, s[20:21]                                   // 00000000C728: BEFE0114
	buffer_store_dword v73, v6, s[8:11], 0 offen               // 00000000C72C: E0701000 80024906
	buffer_store_dword v75, v6, s[8:11], 0 offen offset:128    // 00000000C734: E0701080 80024B06
	s_mov_b64 exec, s[36:37]                                   // 00000000C73C: BEFE0124
	v_mov_b32_e32 v6, v58                                      // 00000000C740: 7E0C033A
	s_mov_b64 s[60:61], 0                                      // 00000000C744: BEBC0180
	v_readlane_b32 s82, v3, 8                                  // 00000000C748: D2890052 00011103
	s_and_b32 s82, s82, 0xffffff                               // 00000000C750: 8652FF52 00FFFFFF
	s_cmp_lt_u32 s82, s66                                      // 00000000C758: BF0A4252
	s_cselect_b32 s20, s36, s60                                // 00000000C75C: 85143C24
	v_readlane_b32 s82, v3, 9                                  // 00000000C760: D2890052 00011303
	s_and_b32 s82, s82, 0xffffff                               // 00000000C768: 8652FF52 00FFFFFF
	s_cmp_lt_u32 s82, s66                                      // 00000000C770: BF0A4252
	s_cselect_b32 s21, s36, s60                                // 00000000C774: 85153C24
	s_mov_b64 exec, s[20:21]                                   // 00000000C778: BEFE0114
	buffer_store_dword v76, v6, s[8:11], 0 offen               // 00000000C77C: E0701000 80024C06
	buffer_store_dword v78, v6, s[8:11], 0 offen offset:128    // 00000000C784: E0701080 80024E06
	s_mov_b64 exec, s[36:37]                                   // 00000000C78C: BEFE0124
	v_mov_b32_e32 v6, v59                                      // 00000000C790: 7E0C033B
	s_mov_b64 s[60:61], 0                                      // 00000000C794: BEBC0180
	v_readlane_b32 s82, v3, 10                                 // 00000000C798: D2890052 00011503
	s_and_b32 s82, s82, 0xffffff                               // 00000000C7A0: 8652FF52 00FFFFFF
	s_cmp_lt_u32 s82, s66                                      // 00000000C7A8: BF0A4252
	s_cselect_b32 s20, s36, s60                                // 00000000C7AC: 85143C24
	v_readlane_b32 s82, v3, 11                                 // 00000000C7B0: D2890052 00011703
	s_and_b32 s82, s82, 0xffffff                               // 00000000C7B8: 8652FF52 00FFFFFF
	s_cmp_lt_u32 s82, s66                                      // 00000000C7C0: BF0A4252
	s_cselect_b32 s21, s36, s60                                // 00000000C7C4: 85153C24
	s_mov_b64 exec, s[20:21]                                   // 00000000C7C8: BEFE0114
	buffer_store_dword v77, v6, s[8:11], 0 offen               // 00000000C7CC: E0701000 80024D06
	buffer_store_dword v79, v6, s[8:11], 0 offen offset:128    // 00000000C7D4: E0701080 80024F06
	s_mov_b64 exec, s[36:37]                                   // 00000000C7DC: BEFE0124
	v_mov_b32_e32 v6, v60                                      // 00000000C7E0: 7E0C033C
	s_mov_b64 s[60:61], 0                                      // 00000000C7E4: BEBC0180
	v_readlane_b32 s82, v3, 12                                 // 00000000C7E8: D2890052 00011903
	s_and_b32 s82, s82, 0xffffff                               // 00000000C7F0: 8652FF52 00FFFFFF
	s_cmp_lt_u32 s82, s66                                      // 00000000C7F8: BF0A4252
	s_cselect_b32 s20, s36, s60                                // 00000000C7FC: 85143C24
	v_readlane_b32 s82, v3, 13                                 // 00000000C800: D2890052 00011B03
	s_and_b32 s82, s82, 0xffffff                               // 00000000C808: 8652FF52 00FFFFFF
	s_cmp_lt_u32 s82, s66                                      // 00000000C810: BF0A4252
	s_cselect_b32 s21, s36, s60                                // 00000000C814: 85153C24
	s_mov_b64 exec, s[20:21]                                   // 00000000C818: BEFE0114
	buffer_store_dword v80, v6, s[8:11], 0 offen               // 00000000C81C: E0701000 80025006
	buffer_store_dword v82, v6, s[8:11], 0 offen offset:128    // 00000000C824: E0701080 80025206
	s_mov_b64 exec, s[36:37]                                   // 00000000C82C: BEFE0124
	v_mov_b32_e32 v6, v61                                      // 00000000C830: 7E0C033D
	s_mov_b64 s[60:61], 0                                      // 00000000C834: BEBC0180
	v_readlane_b32 s82, v3, 14                                 // 00000000C838: D2890052 00011D03
	s_and_b32 s82, s82, 0xffffff                               // 00000000C840: 8652FF52 00FFFFFF
	s_cmp_lt_u32 s82, s66                                      // 00000000C848: BF0A4252
	s_cselect_b32 s20, s36, s60                                // 00000000C84C: 85143C24
	v_readlane_b32 s82, v3, 15                                 // 00000000C850: D2890052 00011F03
	s_and_b32 s82, s82, 0xffffff                               // 00000000C858: 8652FF52 00FFFFFF
	s_cmp_lt_u32 s82, s66                                      // 00000000C860: BF0A4252
	s_cselect_b32 s21, s36, s60                                // 00000000C864: 85153C24
	s_mov_b64 exec, s[20:21]                                   // 00000000C868: BEFE0114
	buffer_store_dword v81, v6, s[8:11], 0 offen               // 00000000C86C: E0701000 80025106
	buffer_store_dword v83, v6, s[8:11], 0 offen offset:128    // 00000000C874: E0701080 80025306
	s_mov_b64 exec, s[36:37]                                   // 00000000C87C: BEFE0124
	v_mov_b32_e32 v6, v62                                      // 00000000C880: 7E0C033E
	s_mov_b64 s[60:61], 0                                      // 00000000C884: BEBC0180
	v_readlane_b32 s82, v3, 16                                 // 00000000C888: D2890052 00012103
	s_and_b32 s82, s82, 0xffffff                               // 00000000C890: 8652FF52 00FFFFFF
	s_cmp_lt_u32 s82, s66                                      // 00000000C898: BF0A4252
	s_cselect_b32 s20, s36, s60                                // 00000000C89C: 85143C24
	v_readlane_b32 s82, v3, 17                                 // 00000000C8A0: D2890052 00012303
	s_and_b32 s82, s82, 0xffffff                               // 00000000C8A8: 8652FF52 00FFFFFF
	s_cmp_lt_u32 s82, s66                                      // 00000000C8B0: BF0A4252
	s_cselect_b32 s21, s36, s60                                // 00000000C8B4: 85153C24
	s_mov_b64 exec, s[20:21]                                   // 00000000C8B8: BEFE0114
	buffer_store_dword v84, v6, s[8:11], 0 offen               // 00000000C8BC: E0701000 80025406
	buffer_store_dword v86, v6, s[8:11], 0 offen offset:128    // 00000000C8C4: E0701080 80025606
	s_mov_b64 exec, s[36:37]                                   // 00000000C8CC: BEFE0124
	v_mov_b32_e32 v6, v63                                      // 00000000C8D0: 7E0C033F
	s_mov_b64 s[60:61], 0                                      // 00000000C8D4: BEBC0180
	v_readlane_b32 s82, v3, 18                                 // 00000000C8D8: D2890052 00012503
	s_and_b32 s82, s82, 0xffffff                               // 00000000C8E0: 8652FF52 00FFFFFF
	s_cmp_lt_u32 s82, s66                                      // 00000000C8E8: BF0A4252
	s_cselect_b32 s20, s36, s60                                // 00000000C8EC: 85143C24
	v_readlane_b32 s82, v3, 19                                 // 00000000C8F0: D2890052 00012703
	s_and_b32 s82, s82, 0xffffff                               // 00000000C8F8: 8652FF52 00FFFFFF
	s_cmp_lt_u32 s82, s66                                      // 00000000C900: BF0A4252
	s_cselect_b32 s21, s36, s60                                // 00000000C904: 85153C24
	s_mov_b64 exec, s[20:21]                                   // 00000000C908: BEFE0114
	buffer_store_dword v85, v6, s[8:11], 0 offen               // 00000000C90C: E0701000 80025506
	buffer_store_dword v87, v6, s[8:11], 0 offen offset:128    // 00000000C914: E0701080 80025706
	s_mov_b64 exec, s[36:37]                                   // 00000000C91C: BEFE0124
	v_mov_b32_e32 v6, v64                                      // 00000000C920: 7E0C0340
	s_mov_b64 s[60:61], 0                                      // 00000000C924: BEBC0180
	v_readlane_b32 s82, v3, 20                                 // 00000000C928: D2890052 00012903
	s_and_b32 s82, s82, 0xffffff                               // 00000000C930: 8652FF52 00FFFFFF
	s_cmp_lt_u32 s82, s66                                      // 00000000C938: BF0A4252
	s_cselect_b32 s20, s36, s60                                // 00000000C93C: 85143C24
	v_readlane_b32 s82, v3, 21                                 // 00000000C940: D2890052 00012B03
	s_and_b32 s82, s82, 0xffffff                               // 00000000C948: 8652FF52 00FFFFFF
	s_cmp_lt_u32 s82, s66                                      // 00000000C950: BF0A4252
	s_cselect_b32 s21, s36, s60                                // 00000000C954: 85153C24
	s_mov_b64 exec, s[20:21]                                   // 00000000C958: BEFE0114
	buffer_store_dword v88, v6, s[8:11], 0 offen               // 00000000C95C: E0701000 80025806
	buffer_store_dword v90, v6, s[8:11], 0 offen offset:128    // 00000000C964: E0701080 80025A06
	s_mov_b64 exec, s[36:37]                                   // 00000000C96C: BEFE0124
	v_mov_b32_e32 v6, v65                                      // 00000000C970: 7E0C0341
	s_mov_b64 s[60:61], 0                                      // 00000000C974: BEBC0180
	v_readlane_b32 s82, v3, 22                                 // 00000000C978: D2890052 00012D03
	s_and_b32 s82, s82, 0xffffff                               // 00000000C980: 8652FF52 00FFFFFF
	s_cmp_lt_u32 s82, s66                                      // 00000000C988: BF0A4252
	s_cselect_b32 s20, s36, s60                                // 00000000C98C: 85143C24
	v_readlane_b32 s82, v3, 23                                 // 00000000C990: D2890052 00012F03
	s_and_b32 s82, s82, 0xffffff                               // 00000000C998: 8652FF52 00FFFFFF
	s_cmp_lt_u32 s82, s66                                      // 00000000C9A0: BF0A4252
	s_cselect_b32 s21, s36, s60                                // 00000000C9A4: 85153C24
	s_mov_b64 exec, s[20:21]                                   // 00000000C9A8: BEFE0114
	buffer_store_dword v89, v6, s[8:11], 0 offen               // 00000000C9AC: E0701000 80025906
	buffer_store_dword v91, v6, s[8:11], 0 offen offset:128    // 00000000C9B4: E0701080 80025B06
	s_mov_b64 exec, s[36:37]                                   // 00000000C9BC: BEFE0124
	s_branch label_2E06                                        // 00000000C9C0: BF820612

000000000000c9c4 <label_27F4>:
	ds_write_b64 v20, v[68:69]                                 // 00000000C9C4: D89A0000 00004414
	ds_write_b64 v20, v[72:73] offset:4352                     // 00000000C9CC: D89A1100 00004814
	ds_write_b64 v20, v[76:77] offset:8704                     // 00000000C9D4: D89A2200 00004C14
	ds_write_b64 v20, v[80:81] offset:13056                    // 00000000C9DC: D89A3300 00005014
	ds_write_b64 v20, v[84:85] offset:17408                    // 00000000C9E4: D89A4400 00005414
	ds_write_b64 v20, v[88:89] offset:21760                    // 00000000C9EC: D89A5500 00005814
	ds_write_b64 v20, v[92:93] offset:2176                     // 00000000C9F4: D89A0880 00005C14
	ds_write_b64 v20, v[96:97] offset:6528                     // 00000000C9FC: D89A1980 00006014
	ds_write_b64 v20, v[100:101] offset:10880                  // 00000000CA04: D89A2A80 00006414
	ds_write_b64 v20, v[104:105] offset:15232                  // 00000000CA0C: D89A3B80 00006814
	ds_write_b64 v20, v[108:109] offset:19584                  // 00000000CA14: D89A4C80 00006C14
	ds_write_b64 v20, v[112:113] offset:23936                  // 00000000CA1C: D89A5D80 00007014
	v_lshrrev_b32_e32 v4, 5, v0                                // 00000000CA24: 20080085
	v_xor_b32_e32 v5, 1, v4                                    // 00000000CA28: 2A0A0881
	s_mul_i32 s60, s65, 2                                      // 00000000CA2C: 923C8241
	s_cmp_eq_u32 s88, 0                                        // 00000000CA30: BF068058
	s_cselect_b32 s61, 1, 4                                    // 00000000CA34: 853D8481
	s_mul_i32 s60, s61, s60                                    // 00000000CA38: 923C3C3D
	v_readlane_b32 s82, v3, 0                                  // 00000000CA3C: D2890052 00010103
	s_lshr_b32 s61, s82, 24                                    // 00000000CA44: 8F3D9852
	s_and_b32 s82, s82, 0xffffff                               // 00000000CA48: 8652FF52 00FFFFFF
	s_mul_i32 s82, s82, s71                                    // 00000000CA50: 92524752
	s_mul_i32 s61, s60, s61                                    // 00000000CA54: 923D3D3C
	s_add_u32 s82, s82, s61                                    // 00000000CA58: 80523D52
	v_mul_lo_u32 v6, v5, s82                                   // 00000000CA5C: D2850006 0000A505
	v_readlane_b32 s82, v3, 1                                  // 00000000CA64: D2890052 00010303
	s_lshr_b32 s61, s82, 24                                    // 00000000CA6C: 8F3D9852
	s_and_b32 s82, s82, 0xffffff                               // 00000000CA70: 8652FF52 00FFFFFF
	s_mul_i32 s82, s82, s71                                    // 00000000CA78: 92524752
	s_mul_i32 s61, s60, s61                                    // 00000000CA7C: 923D3D3C
	s_add_u32 s82, s82, s61                                    // 00000000CA80: 80523D52
	v_mul_lo_u32 v7, v4, s82                                   // 00000000CA84: D2850007 0000A504
	v_add_u32_e32 v54, v6, v7                                  // 00000000CA8C: 686C0F06
	v_readlane_b32 s82, v3, 2                                  // 00000000CA90: D2890052 00010503
	s_lshr_b32 s61, s82, 24                                    // 00000000CA98: 8F3D9852
	s_and_b32 s82, s82, 0xffffff                               // 00000000CA9C: 8652FF52 00FFFFFF
	s_mul_i32 s82, s82, s71                                    // 00000000CAA4: 92524752
	s_mul_i32 s61, s60, s61                                    // 00000000CAA8: 923D3D3C
	s_add_u32 s82, s82, s61                                    // 00000000CAAC: 80523D52
	v_mul_lo_u32 v6, v5, s82                                   // 00000000CAB0: D2850006 0000A505
	v_readlane_b32 s82, v3, 3                                  // 00000000CAB8: D2890052 00010703
	s_lshr_b32 s61, s82, 24                                    // 00000000CAC0: 8F3D9852
	s_and_b32 s82, s82, 0xffffff                               // 00000000CAC4: 8652FF52 00FFFFFF
	s_mul_i32 s82, s82, s71                                    // 00000000CACC: 92524752
	s_mul_i32 s61, s60, s61                                    // 00000000CAD0: 923D3D3C
	s_add_u32 s82, s82, s61                                    // 00000000CAD4: 80523D52
	v_mul_lo_u32 v7, v4, s82                                   // 00000000CAD8: D2850007 0000A504
	v_add_u32_e32 v55, v6, v7                                  // 00000000CAE0: 686E0F06
	v_readlane_b32 s82, v3, 4                                  // 00000000CAE4: D2890052 00010903
	s_lshr_b32 s61, s82, 24                                    // 00000000CAEC: 8F3D9852
	s_and_b32 s82, s82, 0xffffff                               // 00000000CAF0: 8652FF52 00FFFFFF
	s_mul_i32 s82, s82, s71                                    // 00000000CAF8: 92524752
	s_mul_i32 s61, s60, s61                                    // 00000000CAFC: 923D3D3C
	s_add_u32 s82, s82, s61                                    // 00000000CB00: 80523D52
	v_mul_lo_u32 v6, v5, s82                                   // 00000000CB04: D2850006 0000A505
	v_readlane_b32 s82, v3, 5                                  // 00000000CB0C: D2890052 00010B03
	s_lshr_b32 s61, s82, 24                                    // 00000000CB14: 8F3D9852
	s_and_b32 s82, s82, 0xffffff                               // 00000000CB18: 8652FF52 00FFFFFF
	s_mul_i32 s82, s82, s71                                    // 00000000CB20: 92524752
	s_mul_i32 s61, s60, s61                                    // 00000000CB24: 923D3D3C
	s_add_u32 s82, s82, s61                                    // 00000000CB28: 80523D52
	v_mul_lo_u32 v7, v4, s82                                   // 00000000CB2C: D2850007 0000A504
	v_add_u32_e32 v56, v6, v7                                  // 00000000CB34: 68700F06
	v_readlane_b32 s82, v3, 6                                  // 00000000CB38: D2890052 00010D03
	s_lshr_b32 s61, s82, 24                                    // 00000000CB40: 8F3D9852
	s_and_b32 s82, s82, 0xffffff                               // 00000000CB44: 8652FF52 00FFFFFF
	s_mul_i32 s82, s82, s71                                    // 00000000CB4C: 92524752
	s_mul_i32 s61, s60, s61                                    // 00000000CB50: 923D3D3C
	s_add_u32 s82, s82, s61                                    // 00000000CB54: 80523D52
	v_mul_lo_u32 v6, v5, s82                                   // 00000000CB58: D2850006 0000A505
	v_readlane_b32 s82, v3, 7                                  // 00000000CB60: D2890052 00010F03
	s_lshr_b32 s61, s82, 24                                    // 00000000CB68: 8F3D9852
	s_and_b32 s82, s82, 0xffffff                               // 00000000CB6C: 8652FF52 00FFFFFF
	s_mul_i32 s82, s82, s71                                    // 00000000CB74: 92524752
	s_mul_i32 s61, s60, s61                                    // 00000000CB78: 923D3D3C
	s_add_u32 s82, s82, s61                                    // 00000000CB7C: 80523D52
	v_mul_lo_u32 v7, v4, s82                                   // 00000000CB80: D2850007 0000A504
	v_add_u32_e32 v57, v6, v7                                  // 00000000CB88: 68720F06
	v_readlane_b32 s82, v3, 8                                  // 00000000CB8C: D2890052 00011103
	s_lshr_b32 s61, s82, 24                                    // 00000000CB94: 8F3D9852
	s_and_b32 s82, s82, 0xffffff                               // 00000000CB98: 8652FF52 00FFFFFF
	s_mul_i32 s82, s82, s71                                    // 00000000CBA0: 92524752
	s_mul_i32 s61, s60, s61                                    // 00000000CBA4: 923D3D3C
	s_add_u32 s82, s82, s61                                    // 00000000CBA8: 80523D52
	v_mul_lo_u32 v6, v5, s82                                   // 00000000CBAC: D2850006 0000A505
	v_readlane_b32 s82, v3, 9                                  // 00000000CBB4: D2890052 00011303
	s_lshr_b32 s61, s82, 24                                    // 00000000CBBC: 8F3D9852
	s_and_b32 s82, s82, 0xffffff                               // 00000000CBC0: 8652FF52 00FFFFFF
	s_mul_i32 s82, s82, s71                                    // 00000000CBC8: 92524752
	s_mul_i32 s61, s60, s61                                    // 00000000CBCC: 923D3D3C
	s_add_u32 s82, s82, s61                                    // 00000000CBD0: 80523D52
	v_mul_lo_u32 v7, v4, s82                                   // 00000000CBD4: D2850007 0000A504
	v_add_u32_e32 v58, v6, v7                                  // 00000000CBDC: 68740F06
	v_readlane_b32 s82, v3, 10                                 // 00000000CBE0: D2890052 00011503
	s_lshr_b32 s61, s82, 24                                    // 00000000CBE8: 8F3D9852
	s_and_b32 s82, s82, 0xffffff                               // 00000000CBEC: 8652FF52 00FFFFFF
	s_mul_i32 s82, s82, s71                                    // 00000000CBF4: 92524752
	s_mul_i32 s61, s60, s61                                    // 00000000CBF8: 923D3D3C
	s_add_u32 s82, s82, s61                                    // 00000000CBFC: 80523D52
	v_mul_lo_u32 v6, v5, s82                                   // 00000000CC00: D2850006 0000A505
	v_readlane_b32 s82, v3, 11                                 // 00000000CC08: D2890052 00011703
	s_lshr_b32 s61, s82, 24                                    // 00000000CC10: 8F3D9852
	s_and_b32 s82, s82, 0xffffff                               // 00000000CC14: 8652FF52 00FFFFFF
	s_mul_i32 s82, s82, s71                                    // 00000000CC1C: 92524752
	s_mul_i32 s61, s60, s61                                    // 00000000CC20: 923D3D3C
	s_add_u32 s82, s82, s61                                    // 00000000CC24: 80523D52
	v_mul_lo_u32 v7, v4, s82                                   // 00000000CC28: D2850007 0000A504
	v_add_u32_e32 v59, v6, v7                                  // 00000000CC30: 68760F06
	v_readlane_b32 s82, v3, 12                                 // 00000000CC34: D2890052 00011903
	s_lshr_b32 s61, s82, 24                                    // 00000000CC3C: 8F3D9852
	s_and_b32 s82, s82, 0xffffff                               // 00000000CC40: 8652FF52 00FFFFFF
	s_mul_i32 s82, s82, s71                                    // 00000000CC48: 92524752
	s_mul_i32 s61, s60, s61                                    // 00000000CC4C: 923D3D3C
	s_add_u32 s82, s82, s61                                    // 00000000CC50: 80523D52
	v_mul_lo_u32 v6, v5, s82                                   // 00000000CC54: D2850006 0000A505
	v_readlane_b32 s82, v3, 13                                 // 00000000CC5C: D2890052 00011B03
	s_lshr_b32 s61, s82, 24                                    // 00000000CC64: 8F3D9852
	s_and_b32 s82, s82, 0xffffff                               // 00000000CC68: 8652FF52 00FFFFFF
	s_mul_i32 s82, s82, s71                                    // 00000000CC70: 92524752
	s_mul_i32 s61, s60, s61                                    // 00000000CC74: 923D3D3C
	s_add_u32 s82, s82, s61                                    // 00000000CC78: 80523D52
	v_mul_lo_u32 v7, v4, s82                                   // 00000000CC7C: D2850007 0000A504
	v_add_u32_e32 v60, v6, v7                                  // 00000000CC84: 68780F06
	v_readlane_b32 s82, v3, 14                                 // 00000000CC88: D2890052 00011D03
	s_lshr_b32 s61, s82, 24                                    // 00000000CC90: 8F3D9852
	s_and_b32 s82, s82, 0xffffff                               // 00000000CC94: 8652FF52 00FFFFFF
	s_mul_i32 s82, s82, s71                                    // 00000000CC9C: 92524752
	s_mul_i32 s61, s60, s61                                    // 00000000CCA0: 923D3D3C
	s_add_u32 s82, s82, s61                                    // 00000000CCA4: 80523D52
	v_mul_lo_u32 v6, v5, s82                                   // 00000000CCA8: D2850006 0000A505
	v_readlane_b32 s82, v3, 15                                 // 00000000CCB0: D2890052 00011F03
	s_lshr_b32 s61, s82, 24                                    // 00000000CCB8: 8F3D9852
	s_and_b32 s82, s82, 0xffffff                               // 00000000CCBC: 8652FF52 00FFFFFF
	s_mul_i32 s82, s82, s71                                    // 00000000CCC4: 92524752
	s_mul_i32 s61, s60, s61                                    // 00000000CCC8: 923D3D3C
	s_add_u32 s82, s82, s61                                    // 00000000CCCC: 80523D52
	v_mul_lo_u32 v7, v4, s82                                   // 00000000CCD0: D2850007 0000A504
	v_add_u32_e32 v61, v6, v7                                  // 00000000CCD8: 687A0F06
	v_readlane_b32 s82, v3, 16                                 // 00000000CCDC: D2890052 00012103
	s_lshr_b32 s61, s82, 24                                    // 00000000CCE4: 8F3D9852
	s_and_b32 s82, s82, 0xffffff                               // 00000000CCE8: 8652FF52 00FFFFFF
	s_mul_i32 s82, s82, s71                                    // 00000000CCF0: 92524752
	s_mul_i32 s61, s60, s61                                    // 00000000CCF4: 923D3D3C
	s_add_u32 s82, s82, s61                                    // 00000000CCF8: 80523D52
	v_mul_lo_u32 v6, v5, s82                                   // 00000000CCFC: D2850006 0000A505
	v_readlane_b32 s82, v3, 17                                 // 00000000CD04: D2890052 00012303
	s_lshr_b32 s61, s82, 24                                    // 00000000CD0C: 8F3D9852
	s_and_b32 s82, s82, 0xffffff                               // 00000000CD10: 8652FF52 00FFFFFF
	s_mul_i32 s82, s82, s71                                    // 00000000CD18: 92524752
	s_mul_i32 s61, s60, s61                                    // 00000000CD1C: 923D3D3C
	s_add_u32 s82, s82, s61                                    // 00000000CD20: 80523D52
	v_mul_lo_u32 v7, v4, s82                                   // 00000000CD24: D2850007 0000A504
	v_add_u32_e32 v62, v6, v7                                  // 00000000CD2C: 687C0F06
	v_readlane_b32 s82, v3, 18                                 // 00000000CD30: D2890052 00012503
	s_lshr_b32 s61, s82, 24                                    // 00000000CD38: 8F3D9852
	s_and_b32 s82, s82, 0xffffff                               // 00000000CD3C: 8652FF52 00FFFFFF
	s_mul_i32 s82, s82, s71                                    // 00000000CD44: 92524752
	s_mul_i32 s61, s60, s61                                    // 00000000CD48: 923D3D3C
	s_add_u32 s82, s82, s61                                    // 00000000CD4C: 80523D52
	v_mul_lo_u32 v6, v5, s82                                   // 00000000CD50: D2850006 0000A505
	v_readlane_b32 s82, v3, 19                                 // 00000000CD58: D2890052 00012703
	s_lshr_b32 s61, s82, 24                                    // 00000000CD60: 8F3D9852
	s_and_b32 s82, s82, 0xffffff                               // 00000000CD64: 8652FF52 00FFFFFF
	s_mul_i32 s82, s82, s71                                    // 00000000CD6C: 92524752
	s_mul_i32 s61, s60, s61                                    // 00000000CD70: 923D3D3C
	s_add_u32 s82, s82, s61                                    // 00000000CD74: 80523D52
	v_mul_lo_u32 v7, v4, s82                                   // 00000000CD78: D2850007 0000A504
	v_add_u32_e32 v63, v6, v7                                  // 00000000CD80: 687E0F06
	v_readlane_b32 s82, v3, 20                                 // 00000000CD84: D2890052 00012903
	s_lshr_b32 s61, s82, 24                                    // 00000000CD8C: 8F3D9852
	s_and_b32 s82, s82, 0xffffff                               // 00000000CD90: 8652FF52 00FFFFFF
	s_mul_i32 s82, s82, s71                                    // 00000000CD98: 92524752
	s_mul_i32 s61, s60, s61                                    // 00000000CD9C: 923D3D3C
	s_add_u32 s82, s82, s61                                    // 00000000CDA0: 80523D52
	v_mul_lo_u32 v6, v5, s82                                   // 00000000CDA4: D2850006 0000A505
	v_readlane_b32 s82, v3, 21                                 // 00000000CDAC: D2890052 00012B03
	s_lshr_b32 s61, s82, 24                                    // 00000000CDB4: 8F3D9852
	s_and_b32 s82, s82, 0xffffff                               // 00000000CDB8: 8652FF52 00FFFFFF
	s_mul_i32 s82, s82, s71                                    // 00000000CDC0: 92524752
	s_mul_i32 s61, s60, s61                                    // 00000000CDC4: 923D3D3C
	s_add_u32 s82, s82, s61                                    // 00000000CDC8: 80523D52
	v_mul_lo_u32 v7, v4, s82                                   // 00000000CDCC: D2850007 0000A504
	v_add_u32_e32 v64, v6, v7                                  // 00000000CDD4: 68800F06
	v_readlane_b32 s82, v3, 22                                 // 00000000CDD8: D2890052 00012D03
	s_lshr_b32 s61, s82, 24                                    // 00000000CDE0: 8F3D9852
	s_and_b32 s82, s82, 0xffffff                               // 00000000CDE4: 8652FF52 00FFFFFF
	s_mul_i32 s82, s82, s71                                    // 00000000CDEC: 92524752
	s_mul_i32 s61, s60, s61                                    // 00000000CDF0: 923D3D3C
	s_add_u32 s82, s82, s61                                    // 00000000CDF4: 80523D52
	v_mul_lo_u32 v6, v5, s82                                   // 00000000CDF8: D2850006 0000A505
	v_readlane_b32 s82, v3, 23                                 // 00000000CE00: D2890052 00012F03
	s_lshr_b32 s61, s82, 24                                    // 00000000CE08: 8F3D9852
	s_and_b32 s82, s82, 0xffffff                               // 00000000CE0C: 8652FF52 00FFFFFF
	s_mul_i32 s82, s82, s71                                    // 00000000CE14: 92524752
	s_mul_i32 s61, s60, s61                                    // 00000000CE18: 923D3D3C
	s_add_u32 s82, s82, s61                                    // 00000000CE1C: 80523D52
	v_mul_lo_u32 v7, v4, s82                                   // 00000000CE20: D2850007 0000A504
	v_add_u32_e32 v65, v6, v7                                  // 00000000CE28: 68820F06
	v_and_b32_e32 v4, 31, v0                                   // 00000000CE2C: 2608009F
	v_lshrrev_b32_e32 v4, 1, v4                                // 00000000CE30: 20080881
	s_cmp_eq_u32 s88, 0                                        // 00000000CE34: BF068058
	s_cselect_b32 s61, 2, 4                                    // 00000000CE38: 853D8482
	v_mul_lo_u32 v4, v4, s61                                   // 00000000CE3C: D2850004 00007B04
	v_and_b32_e64 v5, v0, 1                                    // 00000000CE44: D1130005 00010300
	v_add_u32_e32 v4, v4, v5                                   // 00000000CE4C: 68080B04
	v_lshlrev_b32_e32 v4, 2, v4                                // 00000000CE50: 24080882
	v_add_u32_e32 v54, v54, v4                                 // 00000000CE54: 686C0936
	v_add_u32_e32 v55, v55, v4                                 // 00000000CE58: 686E0937
	v_add_u32_e32 v56, v56, v4                                 // 00000000CE5C: 68700938
	v_add_u32_e32 v57, v57, v4                                 // 00000000CE60: 68720939
	v_add_u32_e32 v58, v58, v4                                 // 00000000CE64: 6874093A
	v_add_u32_e32 v59, v59, v4                                 // 00000000CE68: 6876093B
	v_add_u32_e32 v60, v60, v4                                 // 00000000CE6C: 6878093C
	v_add_u32_e32 v61, v61, v4                                 // 00000000CE70: 687A093D
	v_add_u32_e32 v62, v62, v4                                 // 00000000CE74: 687C093E
	v_add_u32_e32 v63, v63, v4                                 // 00000000CE78: 687E093F
	v_add_u32_e32 v64, v64, v4                                 // 00000000CE7C: 68800940
	v_add_u32_e32 v65, v65, v4                                 // 00000000CE80: 68820941
	s_waitcnt lgkmcnt(0)                                       // 00000000CE84: BF8CC07F
	s_barrier                                                  // 00000000CE88: BF8A0000
	ds_read_b32 v68, v21                                       // 00000000CE8C: D86C0000 44000015
	ds_read_b32 v69, v21 offset:64                             // 00000000CE94: D86C0040 45000015
	ds_read_b32 v72, v21 offset:2176                           // 00000000CE9C: D86C0880 48000015
	ds_read_b32 v73, v21 offset:2240                           // 00000000CEA4: D86C08C0 49000015
	ds_read_b32 v76, v21 offset:4352                           // 00000000CEAC: D86C1100 4C000015
	ds_read_b32 v77, v21 offset:4416                           // 00000000CEB4: D86C1140 4D000015
	ds_read_b32 v80, v21 offset:6528                           // 00000000CEBC: D86C1980 50000015
	ds_read_b32 v81, v21 offset:6592                           // 00000000CEC4: D86C19C0 51000015
	ds_read_b32 v84, v21 offset:8704                           // 00000000CECC: D86C2200 54000015
	ds_read_b32 v85, v21 offset:8768                           // 00000000CED4: D86C2240 55000015
	ds_read_b32 v88, v21 offset:10880                          // 00000000CEDC: D86C2A80 58000015
	ds_read_b32 v89, v21 offset:10944                          // 00000000CEE4: D86C2AC0 59000015
	ds_read_b32 v92, v21 offset:13056                          // 00000000CEEC: D86C3300 5C000015
	ds_read_b32 v93, v21 offset:13120                          // 00000000CEF4: D86C3340 5D000015
	ds_read_b32 v96, v21 offset:15232                          // 00000000CEFC: D86C3B80 60000015
	ds_read_b32 v97, v21 offset:15296                          // 00000000CF04: D86C3BC0 61000015
	ds_read_b32 v100, v21 offset:17408                         // 00000000CF0C: D86C4400 64000015
	ds_read_b32 v101, v21 offset:17472                         // 00000000CF14: D86C4440 65000015
	ds_read_b32 v104, v21 offset:19584                         // 00000000CF1C: D86C4C80 68000015
	ds_read_b32 v105, v21 offset:19648                         // 00000000CF24: D86C4CC0 69000015
	ds_read_b32 v108, v21 offset:21760                         // 00000000CF2C: D86C5500 6C000015
	ds_read_b32 v109, v21 offset:21824                         // 00000000CF34: D86C5540 6D000015
	ds_read_b32 v112, v21 offset:23936                         // 00000000CF3C: D86C5D80 70000015
	ds_read_b32 v113, v21 offset:24000                         // 00000000CF44: D86C5DC0 71000015
	s_waitcnt lgkmcnt(0)                                       // 00000000CF4C: BF8CC07F
	s_mov_b32 s36, -1                                          // 00000000CF50: BEA400C1
	s_mov_b32 s37, -1                                          // 00000000CF54: BEA500C1
	v_mov_b32_e32 v7, 0                                        // 00000000CF58: 7E0E0280
	s_mov_b64 exec, s[36:37]                                   // 00000000CF5C: BEFE0124
	v_mov_b32_e32 v6, v54                                      // 00000000CF60: 7E0C0336
	s_mov_b64 s[60:61], 0                                      // 00000000CF64: BEBC0180
	v_readlane_b32 s82, v3, 0                                  // 00000000CF68: D2890052 00010103
	s_and_b32 s82, s82, 0xffffff                               // 00000000CF70: 8652FF52 00FFFFFF
	s_cmp_lt_u32 s82, s66                                      // 00000000CF78: BF0A4252
	s_cselect_b32 s20, s36, s60                                // 00000000CF7C: 85143C24
	v_readlane_b32 s82, v3, 1                                  // 00000000CF80: D2890052 00010303
	s_and_b32 s82, s82, 0xffffff                               // 00000000CF88: 8652FF52 00FFFFFF
	s_cmp_lt_u32 s82, s66                                      // 00000000CF90: BF0A4252
	s_cselect_b32 s21, s36, s60                                // 00000000CF94: 85153C24
	s_mov_b64 exec, s[20:21]                                   // 00000000CF98: BEFE0114
	global_atomic_add_f32 v6, v68, s[8:9]                      // 00000000CF9C: DD348000 00084406
	global_atomic_add_f32 v6, v72, s[8:9] offset:256           // 00000000CFA4: DD348100 00084806
	s_mov_b64 exec, s[36:37]                                   // 00000000CFAC: BEFE0124
	v_mov_b32_e32 v6, v55                                      // 00000000CFB0: 7E0C0337
	s_mov_b64 s[60:61], 0                                      // 00000000CFB4: BEBC0180
	v_readlane_b32 s82, v3, 2                                  // 00000000CFB8: D2890052 00010503
	s_and_b32 s82, s82, 0xffffff                               // 00000000CFC0: 8652FF52 00FFFFFF
	s_cmp_lt_u32 s82, s66                                      // 00000000CFC8: BF0A4252
	s_cselect_b32 s20, s36, s60                                // 00000000CFCC: 85143C24
	v_readlane_b32 s82, v3, 3                                  // 00000000CFD0: D2890052 00010703
	s_and_b32 s82, s82, 0xffffff                               // 00000000CFD8: 8652FF52 00FFFFFF
	s_cmp_lt_u32 s82, s66                                      // 00000000CFE0: BF0A4252
	s_cselect_b32 s21, s36, s60                                // 00000000CFE4: 85153C24
	s_mov_b64 exec, s[20:21]                                   // 00000000CFE8: BEFE0114
	global_atomic_add_f32 v6, v69, s[8:9]                      // 00000000CFEC: DD348000 00084506
	global_atomic_add_f32 v6, v73, s[8:9] offset:256           // 00000000CFF4: DD348100 00084906
	s_mov_b64 exec, s[36:37]                                   // 00000000CFFC: BEFE0124
	v_mov_b32_e32 v6, v56                                      // 00000000D000: 7E0C0338
	s_mov_b64 s[60:61], 0                                      // 00000000D004: BEBC0180
	v_readlane_b32 s82, v3, 4                                  // 00000000D008: D2890052 00010903
	s_and_b32 s82, s82, 0xffffff                               // 00000000D010: 8652FF52 00FFFFFF
	s_cmp_lt_u32 s82, s66                                      // 00000000D018: BF0A4252
	s_cselect_b32 s20, s36, s60                                // 00000000D01C: 85143C24
	v_readlane_b32 s82, v3, 5                                  // 00000000D020: D2890052 00010B03
	s_and_b32 s82, s82, 0xffffff                               // 00000000D028: 8652FF52 00FFFFFF
	s_cmp_lt_u32 s82, s66                                      // 00000000D030: BF0A4252
	s_cselect_b32 s21, s36, s60                                // 00000000D034: 85153C24
	s_mov_b64 exec, s[20:21]                                   // 00000000D038: BEFE0114
	global_atomic_add_f32 v6, v76, s[8:9]                      // 00000000D03C: DD348000 00084C06
	global_atomic_add_f32 v6, v80, s[8:9] offset:256           // 00000000D044: DD348100 00085006
	s_mov_b64 exec, s[36:37]                                   // 00000000D04C: BEFE0124
	v_mov_b32_e32 v6, v57                                      // 00000000D050: 7E0C0339
	s_mov_b64 s[60:61], 0                                      // 00000000D054: BEBC0180
	v_readlane_b32 s82, v3, 6                                  // 00000000D058: D2890052 00010D03
	s_and_b32 s82, s82, 0xffffff                               // 00000000D060: 8652FF52 00FFFFFF
	s_cmp_lt_u32 s82, s66                                      // 00000000D068: BF0A4252
	s_cselect_b32 s20, s36, s60                                // 00000000D06C: 85143C24
	v_readlane_b32 s82, v3, 7                                  // 00000000D070: D2890052 00010F03
	s_and_b32 s82, s82, 0xffffff                               // 00000000D078: 8652FF52 00FFFFFF
	s_cmp_lt_u32 s82, s66                                      // 00000000D080: BF0A4252
	s_cselect_b32 s21, s36, s60                                // 00000000D084: 85153C24
	s_mov_b64 exec, s[20:21]                                   // 00000000D088: BEFE0114
	global_atomic_add_f32 v6, v77, s[8:9]                      // 00000000D08C: DD348000 00084D06
	global_atomic_add_f32 v6, v81, s[8:9] offset:256           // 00000000D094: DD348100 00085106
	s_mov_b64 exec, s[36:37]                                   // 00000000D09C: BEFE0124
	v_mov_b32_e32 v6, v58                                      // 00000000D0A0: 7E0C033A
	s_mov_b64 s[60:61], 0                                      // 00000000D0A4: BEBC0180
	v_readlane_b32 s82, v3, 8                                  // 00000000D0A8: D2890052 00011103
	s_and_b32 s82, s82, 0xffffff                               // 00000000D0B0: 8652FF52 00FFFFFF
	s_cmp_lt_u32 s82, s66                                      // 00000000D0B8: BF0A4252
	s_cselect_b32 s20, s36, s60                                // 00000000D0BC: 85143C24
	v_readlane_b32 s82, v3, 9                                  // 00000000D0C0: D2890052 00011303
	s_and_b32 s82, s82, 0xffffff                               // 00000000D0C8: 8652FF52 00FFFFFF
	s_cmp_lt_u32 s82, s66                                      // 00000000D0D0: BF0A4252
	s_cselect_b32 s21, s36, s60                                // 00000000D0D4: 85153C24
	s_mov_b64 exec, s[20:21]                                   // 00000000D0D8: BEFE0114
	global_atomic_add_f32 v6, v84, s[8:9]                      // 00000000D0DC: DD348000 00085406
	global_atomic_add_f32 v6, v88, s[8:9] offset:256           // 00000000D0E4: DD348100 00085806
	s_mov_b64 exec, s[36:37]                                   // 00000000D0EC: BEFE0124
	v_mov_b32_e32 v6, v59                                      // 00000000D0F0: 7E0C033B
	s_mov_b64 s[60:61], 0                                      // 00000000D0F4: BEBC0180
	v_readlane_b32 s82, v3, 10                                 // 00000000D0F8: D2890052 00011503
	s_and_b32 s82, s82, 0xffffff                               // 00000000D100: 8652FF52 00FFFFFF
	s_cmp_lt_u32 s82, s66                                      // 00000000D108: BF0A4252
	s_cselect_b32 s20, s36, s60                                // 00000000D10C: 85143C24
	v_readlane_b32 s82, v3, 11                                 // 00000000D110: D2890052 00011703
	s_and_b32 s82, s82, 0xffffff                               // 00000000D118: 8652FF52 00FFFFFF
	s_cmp_lt_u32 s82, s66                                      // 00000000D120: BF0A4252
	s_cselect_b32 s21, s36, s60                                // 00000000D124: 85153C24
	s_mov_b64 exec, s[20:21]                                   // 00000000D128: BEFE0114
	global_atomic_add_f32 v6, v85, s[8:9]                      // 00000000D12C: DD348000 00085506
	global_atomic_add_f32 v6, v89, s[8:9] offset:256           // 00000000D134: DD348100 00085906
	s_mov_b64 exec, s[36:37]                                   // 00000000D13C: BEFE0124
	v_mov_b32_e32 v6, v60                                      // 00000000D140: 7E0C033C
	s_mov_b64 s[60:61], 0                                      // 00000000D144: BEBC0180
	v_readlane_b32 s82, v3, 12                                 // 00000000D148: D2890052 00011903
	s_and_b32 s82, s82, 0xffffff                               // 00000000D150: 8652FF52 00FFFFFF
	s_cmp_lt_u32 s82, s66                                      // 00000000D158: BF0A4252
	s_cselect_b32 s20, s36, s60                                // 00000000D15C: 85143C24
	v_readlane_b32 s82, v3, 13                                 // 00000000D160: D2890052 00011B03
	s_and_b32 s82, s82, 0xffffff                               // 00000000D168: 8652FF52 00FFFFFF
	s_cmp_lt_u32 s82, s66                                      // 00000000D170: BF0A4252
	s_cselect_b32 s21, s36, s60                                // 00000000D174: 85153C24
	s_mov_b64 exec, s[20:21]                                   // 00000000D178: BEFE0114
	global_atomic_add_f32 v6, v92, s[8:9]                      // 00000000D17C: DD348000 00085C06
	global_atomic_add_f32 v6, v96, s[8:9] offset:256           // 00000000D184: DD348100 00086006
	s_mov_b64 exec, s[36:37]                                   // 00000000D18C: BEFE0124
	v_mov_b32_e32 v6, v61                                      // 00000000D190: 7E0C033D
	s_mov_b64 s[60:61], 0                                      // 00000000D194: BEBC0180
	v_readlane_b32 s82, v3, 14                                 // 00000000D198: D2890052 00011D03
	s_and_b32 s82, s82, 0xffffff                               // 00000000D1A0: 8652FF52 00FFFFFF
	s_cmp_lt_u32 s82, s66                                      // 00000000D1A8: BF0A4252
	s_cselect_b32 s20, s36, s60                                // 00000000D1AC: 85143C24
	v_readlane_b32 s82, v3, 15                                 // 00000000D1B0: D2890052 00011F03
	s_and_b32 s82, s82, 0xffffff                               // 00000000D1B8: 8652FF52 00FFFFFF
	s_cmp_lt_u32 s82, s66                                      // 00000000D1C0: BF0A4252
	s_cselect_b32 s21, s36, s60                                // 00000000D1C4: 85153C24
	s_mov_b64 exec, s[20:21]                                   // 00000000D1C8: BEFE0114
	global_atomic_add_f32 v6, v93, s[8:9]                      // 00000000D1CC: DD348000 00085D06
	global_atomic_add_f32 v6, v97, s[8:9] offset:256           // 00000000D1D4: DD348100 00086106
	s_mov_b64 exec, s[36:37]                                   // 00000000D1DC: BEFE0124
	v_mov_b32_e32 v6, v62                                      // 00000000D1E0: 7E0C033E
	s_mov_b64 s[60:61], 0                                      // 00000000D1E4: BEBC0180
	v_readlane_b32 s82, v3, 16                                 // 00000000D1E8: D2890052 00012103
	s_and_b32 s82, s82, 0xffffff                               // 00000000D1F0: 8652FF52 00FFFFFF
	s_cmp_lt_u32 s82, s66                                      // 00000000D1F8: BF0A4252
	s_cselect_b32 s20, s36, s60                                // 00000000D1FC: 85143C24
	v_readlane_b32 s82, v3, 17                                 // 00000000D200: D2890052 00012303
	s_and_b32 s82, s82, 0xffffff                               // 00000000D208: 8652FF52 00FFFFFF
	s_cmp_lt_u32 s82, s66                                      // 00000000D210: BF0A4252
	s_cselect_b32 s21, s36, s60                                // 00000000D214: 85153C24
	s_mov_b64 exec, s[20:21]                                   // 00000000D218: BEFE0114
	global_atomic_add_f32 v6, v100, s[8:9]                     // 00000000D21C: DD348000 00086406
	global_atomic_add_f32 v6, v104, s[8:9] offset:256          // 00000000D224: DD348100 00086806
	s_mov_b64 exec, s[36:37]                                   // 00000000D22C: BEFE0124
	v_mov_b32_e32 v6, v63                                      // 00000000D230: 7E0C033F
	s_mov_b64 s[60:61], 0                                      // 00000000D234: BEBC0180
	v_readlane_b32 s82, v3, 18                                 // 00000000D238: D2890052 00012503
	s_and_b32 s82, s82, 0xffffff                               // 00000000D240: 8652FF52 00FFFFFF
	s_cmp_lt_u32 s82, s66                                      // 00000000D248: BF0A4252
	s_cselect_b32 s20, s36, s60                                // 00000000D24C: 85143C24
	v_readlane_b32 s82, v3, 19                                 // 00000000D250: D2890052 00012703
	s_and_b32 s82, s82, 0xffffff                               // 00000000D258: 8652FF52 00FFFFFF
	s_cmp_lt_u32 s82, s66                                      // 00000000D260: BF0A4252
	s_cselect_b32 s21, s36, s60                                // 00000000D264: 85153C24
	s_mov_b64 exec, s[20:21]                                   // 00000000D268: BEFE0114
	global_atomic_add_f32 v6, v101, s[8:9]                     // 00000000D26C: DD348000 00086506
	global_atomic_add_f32 v6, v105, s[8:9] offset:256          // 00000000D274: DD348100 00086906
	s_mov_b64 exec, s[36:37]                                   // 00000000D27C: BEFE0124
	v_mov_b32_e32 v6, v64                                      // 00000000D280: 7E0C0340
	s_mov_b64 s[60:61], 0                                      // 00000000D284: BEBC0180
	v_readlane_b32 s82, v3, 20                                 // 00000000D288: D2890052 00012903
	s_and_b32 s82, s82, 0xffffff                               // 00000000D290: 8652FF52 00FFFFFF
	s_cmp_lt_u32 s82, s66                                      // 00000000D298: BF0A4252
	s_cselect_b32 s20, s36, s60                                // 00000000D29C: 85143C24
	v_readlane_b32 s82, v3, 21                                 // 00000000D2A0: D2890052 00012B03
	s_and_b32 s82, s82, 0xffffff                               // 00000000D2A8: 8652FF52 00FFFFFF
	s_cmp_lt_u32 s82, s66                                      // 00000000D2B0: BF0A4252
	s_cselect_b32 s21, s36, s60                                // 00000000D2B4: 85153C24
	s_mov_b64 exec, s[20:21]                                   // 00000000D2B8: BEFE0114
	global_atomic_add_f32 v6, v108, s[8:9]                     // 00000000D2BC: DD348000 00086C06
	global_atomic_add_f32 v6, v112, s[8:9] offset:256          // 00000000D2C4: DD348100 00087006
	s_mov_b64 exec, s[36:37]                                   // 00000000D2CC: BEFE0124
	v_mov_b32_e32 v6, v65                                      // 00000000D2D0: 7E0C0341
	s_mov_b64 s[60:61], 0                                      // 00000000D2D4: BEBC0180
	v_readlane_b32 s82, v3, 22                                 // 00000000D2D8: D2890052 00012D03
	s_and_b32 s82, s82, 0xffffff                               // 00000000D2E0: 8652FF52 00FFFFFF
	s_cmp_lt_u32 s82, s66                                      // 00000000D2E8: BF0A4252
	s_cselect_b32 s20, s36, s60                                // 00000000D2EC: 85143C24
	v_readlane_b32 s82, v3, 23                                 // 00000000D2F0: D2890052 00012F03
	s_and_b32 s82, s82, 0xffffff                               // 00000000D2F8: 8652FF52 00FFFFFF
	s_cmp_lt_u32 s82, s66                                      // 00000000D300: BF0A4252
	s_cselect_b32 s21, s36, s60                                // 00000000D304: 85153C24
	s_mov_b64 exec, s[20:21]                                   // 00000000D308: BEFE0114
	global_atomic_add_f32 v6, v109, s[8:9]                     // 00000000D30C: DD348000 00086D06
	global_atomic_add_f32 v6, v113, s[8:9] offset:256          // 00000000D314: DD348100 00087106
	s_mov_b64 exec, s[36:37]                                   // 00000000D31C: BEFE0124
	ds_write_b64 v20, v[70:71]                                 // 00000000D320: D89A0000 00004614
	ds_write_b64 v20, v[74:75] offset:4352                     // 00000000D328: D89A1100 00004A14
	ds_write_b64 v20, v[78:79] offset:8704                     // 00000000D330: D89A2200 00004E14
	ds_write_b64 v20, v[82:83] offset:13056                    // 00000000D338: D89A3300 00005214
	ds_write_b64 v20, v[86:87] offset:17408                    // 00000000D340: D89A4400 00005614
	ds_write_b64 v20, v[90:91] offset:21760                    // 00000000D348: D89A5500 00005A14
	ds_write_b64 v20, v[94:95] offset:2176                     // 00000000D350: D89A0880 00005E14
	ds_write_b64 v20, v[98:99] offset:6528                     // 00000000D358: D89A1980 00006214
	ds_write_b64 v20, v[102:103] offset:10880                  // 00000000D360: D89A2A80 00006614
	ds_write_b64 v20, v[106:107] offset:15232                  // 00000000D368: D89A3B80 00006A14
	ds_write_b64 v20, v[110:111] offset:19584                  // 00000000D370: D89A4C80 00006E14
	ds_write_b64 v20, v[114:115] offset:23936                  // 00000000D378: D89A5D80 00007214
	s_waitcnt lgkmcnt(0)                                       // 00000000D380: BF8CC07F
	s_barrier                                                  // 00000000D384: BF8A0000
	ds_read_b32 v70, v21                                       // 00000000D388: D86C0000 46000015
	ds_read_b32 v71, v21 offset:64                             // 00000000D390: D86C0040 47000015
	ds_read_b32 v74, v21 offset:2176                           // 00000000D398: D86C0880 4A000015
	ds_read_b32 v75, v21 offset:2240                           // 00000000D3A0: D86C08C0 4B000015
	ds_read_b32 v78, v21 offset:4352                           // 00000000D3A8: D86C1100 4E000015
	ds_read_b32 v79, v21 offset:4416                           // 00000000D3B0: D86C1140 4F000015
	ds_read_b32 v82, v21 offset:6528                           // 00000000D3B8: D86C1980 52000015
	ds_read_b32 v83, v21 offset:6592                           // 00000000D3C0: D86C19C0 53000015
	ds_read_b32 v86, v21 offset:8704                           // 00000000D3C8: D86C2200 56000015
	ds_read_b32 v87, v21 offset:8768                           // 00000000D3D0: D86C2240 57000015
	ds_read_b32 v90, v21 offset:10880                          // 00000000D3D8: D86C2A80 5A000015
	ds_read_b32 v91, v21 offset:10944                          // 00000000D3E0: D86C2AC0 5B000015
	ds_read_b32 v94, v21 offset:13056                          // 00000000D3E8: D86C3300 5E000015
	ds_read_b32 v95, v21 offset:13120                          // 00000000D3F0: D86C3340 5F000015
	ds_read_b32 v98, v21 offset:15232                          // 00000000D3F8: D86C3B80 62000015
	ds_read_b32 v99, v21 offset:15296                          // 00000000D400: D86C3BC0 63000015
	ds_read_b32 v102, v21 offset:17408                         // 00000000D408: D86C4400 66000015
	ds_read_b32 v103, v21 offset:17472                         // 00000000D410: D86C4440 67000015
	ds_read_b32 v106, v21 offset:19584                         // 00000000D418: D86C4C80 6A000015
	ds_read_b32 v107, v21 offset:19648                         // 00000000D420: D86C4CC0 6B000015
	ds_read_b32 v110, v21 offset:21760                         // 00000000D428: D86C5500 6E000015
	ds_read_b32 v111, v21 offset:21824                         // 00000000D430: D86C5540 6F000015
	ds_read_b32 v114, v21 offset:23936                         // 00000000D438: D86C5D80 72000015
	ds_read_b32 v115, v21 offset:24000                         // 00000000D440: D86C5DC0 73000015
	s_waitcnt lgkmcnt(0)                                       // 00000000D448: BF8CC07F
	v_mov_b32_e32 v7, 0                                        // 00000000D44C: 7E0E0280
	s_mov_b64 exec, s[36:37]                                   // 00000000D450: BEFE0124
	v_mov_b32_e32 v6, v54                                      // 00000000D454: 7E0C0336
	s_mov_b64 s[60:61], 0                                      // 00000000D458: BEBC0180
	v_readlane_b32 s82, v3, 0                                  // 00000000D45C: D2890052 00010103
	s_and_b32 s82, s82, 0xffffff                               // 00000000D464: 8652FF52 00FFFFFF
	s_cmp_lt_u32 s82, s66                                      // 00000000D46C: BF0A4252
	s_cselect_b32 s20, s36, s60                                // 00000000D470: 85143C24
	v_readlane_b32 s82, v3, 1                                  // 00000000D474: D2890052 00010303
	s_and_b32 s82, s82, 0xffffff                               // 00000000D47C: 8652FF52 00FFFFFF
	s_cmp_lt_u32 s82, s66                                      // 00000000D484: BF0A4252
	s_cselect_b32 s21, s36, s60                                // 00000000D488: 85153C24
	s_mov_b64 exec, s[20:21]                                   // 00000000D48C: BEFE0114
	global_atomic_add_f32 v6, v70, s[8:9] offset:8             // 00000000D490: DD348008 00084606
	global_atomic_add_f32 v6, v74, s[8:9] offset:264           // 00000000D498: DD348108 00084A06
	s_mov_b64 exec, s[36:37]                                   // 00000000D4A0: BEFE0124
	v_mov_b32_e32 v6, v55                                      // 00000000D4A4: 7E0C0337
	s_mov_b64 s[60:61], 0                                      // 00000000D4A8: BEBC0180
	v_readlane_b32 s82, v3, 2                                  // 00000000D4AC: D2890052 00010503
	s_and_b32 s82, s82, 0xffffff                               // 00000000D4B4: 8652FF52 00FFFFFF
	s_cmp_lt_u32 s82, s66                                      // 00000000D4BC: BF0A4252
	s_cselect_b32 s20, s36, s60                                // 00000000D4C0: 85143C24
	v_readlane_b32 s82, v3, 3                                  // 00000000D4C4: D2890052 00010703
	s_and_b32 s82, s82, 0xffffff                               // 00000000D4CC: 8652FF52 00FFFFFF
	s_cmp_lt_u32 s82, s66                                      // 00000000D4D4: BF0A4252
	s_cselect_b32 s21, s36, s60                                // 00000000D4D8: 85153C24
	s_mov_b64 exec, s[20:21]                                   // 00000000D4DC: BEFE0114
	global_atomic_add_f32 v6, v71, s[8:9] offset:8             // 00000000D4E0: DD348008 00084706
	global_atomic_add_f32 v6, v75, s[8:9] offset:264           // 00000000D4E8: DD348108 00084B06
	s_mov_b64 exec, s[36:37]                                   // 00000000D4F0: BEFE0124
	v_mov_b32_e32 v6, v56                                      // 00000000D4F4: 7E0C0338
	s_mov_b64 s[60:61], 0                                      // 00000000D4F8: BEBC0180
	v_readlane_b32 s82, v3, 4                                  // 00000000D4FC: D2890052 00010903
	s_and_b32 s82, s82, 0xffffff                               // 00000000D504: 8652FF52 00FFFFFF
	s_cmp_lt_u32 s82, s66                                      // 00000000D50C: BF0A4252
	s_cselect_b32 s20, s36, s60                                // 00000000D510: 85143C24
	v_readlane_b32 s82, v3, 5                                  // 00000000D514: D2890052 00010B03
	s_and_b32 s82, s82, 0xffffff                               // 00000000D51C: 8652FF52 00FFFFFF
	s_cmp_lt_u32 s82, s66                                      // 00000000D524: BF0A4252
	s_cselect_b32 s21, s36, s60                                // 00000000D528: 85153C24
	s_mov_b64 exec, s[20:21]                                   // 00000000D52C: BEFE0114
	global_atomic_add_f32 v6, v78, s[8:9] offset:8             // 00000000D530: DD348008 00084E06
	global_atomic_add_f32 v6, v82, s[8:9] offset:264           // 00000000D538: DD348108 00085206
	s_mov_b64 exec, s[36:37]                                   // 00000000D540: BEFE0124
	v_mov_b32_e32 v6, v57                                      // 00000000D544: 7E0C0339
	s_mov_b64 s[60:61], 0                                      // 00000000D548: BEBC0180
	v_readlane_b32 s82, v3, 6                                  // 00000000D54C: D2890052 00010D03
	s_and_b32 s82, s82, 0xffffff                               // 00000000D554: 8652FF52 00FFFFFF
	s_cmp_lt_u32 s82, s66                                      // 00000000D55C: BF0A4252
	s_cselect_b32 s20, s36, s60                                // 00000000D560: 85143C24
	v_readlane_b32 s82, v3, 7                                  // 00000000D564: D2890052 00010F03
	s_and_b32 s82, s82, 0xffffff                               // 00000000D56C: 8652FF52 00FFFFFF
	s_cmp_lt_u32 s82, s66                                      // 00000000D574: BF0A4252
	s_cselect_b32 s21, s36, s60                                // 00000000D578: 85153C24
	s_mov_b64 exec, s[20:21]                                   // 00000000D57C: BEFE0114
	global_atomic_add_f32 v6, v79, s[8:9] offset:8             // 00000000D580: DD348008 00084F06
	global_atomic_add_f32 v6, v83, s[8:9] offset:264           // 00000000D588: DD348108 00085306
	s_mov_b64 exec, s[36:37]                                   // 00000000D590: BEFE0124
	v_mov_b32_e32 v6, v58                                      // 00000000D594: 7E0C033A
	s_mov_b64 s[60:61], 0                                      // 00000000D598: BEBC0180
	v_readlane_b32 s82, v3, 8                                  // 00000000D59C: D2890052 00011103
	s_and_b32 s82, s82, 0xffffff                               // 00000000D5A4: 8652FF52 00FFFFFF
	s_cmp_lt_u32 s82, s66                                      // 00000000D5AC: BF0A4252
	s_cselect_b32 s20, s36, s60                                // 00000000D5B0: 85143C24
	v_readlane_b32 s82, v3, 9                                  // 00000000D5B4: D2890052 00011303
	s_and_b32 s82, s82, 0xffffff                               // 00000000D5BC: 8652FF52 00FFFFFF
	s_cmp_lt_u32 s82, s66                                      // 00000000D5C4: BF0A4252
	s_cselect_b32 s21, s36, s60                                // 00000000D5C8: 85153C24
	s_mov_b64 exec, s[20:21]                                   // 00000000D5CC: BEFE0114
	global_atomic_add_f32 v6, v86, s[8:9] offset:8             // 00000000D5D0: DD348008 00085606
	global_atomic_add_f32 v6, v90, s[8:9] offset:264           // 00000000D5D8: DD348108 00085A06
	s_mov_b64 exec, s[36:37]                                   // 00000000D5E0: BEFE0124
	v_mov_b32_e32 v6, v59                                      // 00000000D5E4: 7E0C033B
	s_mov_b64 s[60:61], 0                                      // 00000000D5E8: BEBC0180
	v_readlane_b32 s82, v3, 10                                 // 00000000D5EC: D2890052 00011503
	s_and_b32 s82, s82, 0xffffff                               // 00000000D5F4: 8652FF52 00FFFFFF
	s_cmp_lt_u32 s82, s66                                      // 00000000D5FC: BF0A4252
	s_cselect_b32 s20, s36, s60                                // 00000000D600: 85143C24
	v_readlane_b32 s82, v3, 11                                 // 00000000D604: D2890052 00011703
	s_and_b32 s82, s82, 0xffffff                               // 00000000D60C: 8652FF52 00FFFFFF
	s_cmp_lt_u32 s82, s66                                      // 00000000D614: BF0A4252
	s_cselect_b32 s21, s36, s60                                // 00000000D618: 85153C24
	s_mov_b64 exec, s[20:21]                                   // 00000000D61C: BEFE0114
	global_atomic_add_f32 v6, v87, s[8:9] offset:8             // 00000000D620: DD348008 00085706
	global_atomic_add_f32 v6, v91, s[8:9] offset:264           // 00000000D628: DD348108 00085B06
	s_mov_b64 exec, s[36:37]                                   // 00000000D630: BEFE0124
	v_mov_b32_e32 v6, v60                                      // 00000000D634: 7E0C033C
	s_mov_b64 s[60:61], 0                                      // 00000000D638: BEBC0180
	v_readlane_b32 s82, v3, 12                                 // 00000000D63C: D2890052 00011903
	s_and_b32 s82, s82, 0xffffff                               // 00000000D644: 8652FF52 00FFFFFF
	s_cmp_lt_u32 s82, s66                                      // 00000000D64C: BF0A4252
	s_cselect_b32 s20, s36, s60                                // 00000000D650: 85143C24
	v_readlane_b32 s82, v3, 13                                 // 00000000D654: D2890052 00011B03
	s_and_b32 s82, s82, 0xffffff                               // 00000000D65C: 8652FF52 00FFFFFF
	s_cmp_lt_u32 s82, s66                                      // 00000000D664: BF0A4252
	s_cselect_b32 s21, s36, s60                                // 00000000D668: 85153C24
	s_mov_b64 exec, s[20:21]                                   // 00000000D66C: BEFE0114
	global_atomic_add_f32 v6, v94, s[8:9] offset:8             // 00000000D670: DD348008 00085E06
	global_atomic_add_f32 v6, v98, s[8:9] offset:264           // 00000000D678: DD348108 00086206
	s_mov_b64 exec, s[36:37]                                   // 00000000D680: BEFE0124
	v_mov_b32_e32 v6, v61                                      // 00000000D684: 7E0C033D
	s_mov_b64 s[60:61], 0                                      // 00000000D688: BEBC0180
	v_readlane_b32 s82, v3, 14                                 // 00000000D68C: D2890052 00011D03
	s_and_b32 s82, s82, 0xffffff                               // 00000000D694: 8652FF52 00FFFFFF
	s_cmp_lt_u32 s82, s66                                      // 00000000D69C: BF0A4252
	s_cselect_b32 s20, s36, s60                                // 00000000D6A0: 85143C24
	v_readlane_b32 s82, v3, 15                                 // 00000000D6A4: D2890052 00011F03
	s_and_b32 s82, s82, 0xffffff                               // 00000000D6AC: 8652FF52 00FFFFFF
	s_cmp_lt_u32 s82, s66                                      // 00000000D6B4: BF0A4252
	s_cselect_b32 s21, s36, s60                                // 00000000D6B8: 85153C24
	s_mov_b64 exec, s[20:21]                                   // 00000000D6BC: BEFE0114
	global_atomic_add_f32 v6, v95, s[8:9] offset:8             // 00000000D6C0: DD348008 00085F06
	global_atomic_add_f32 v6, v99, s[8:9] offset:264           // 00000000D6C8: DD348108 00086306
	s_mov_b64 exec, s[36:37]                                   // 00000000D6D0: BEFE0124
	v_mov_b32_e32 v6, v62                                      // 00000000D6D4: 7E0C033E
	s_mov_b64 s[60:61], 0                                      // 00000000D6D8: BEBC0180
	v_readlane_b32 s82, v3, 16                                 // 00000000D6DC: D2890052 00012103
	s_and_b32 s82, s82, 0xffffff                               // 00000000D6E4: 8652FF52 00FFFFFF
	s_cmp_lt_u32 s82, s66                                      // 00000000D6EC: BF0A4252
	s_cselect_b32 s20, s36, s60                                // 00000000D6F0: 85143C24
	v_readlane_b32 s82, v3, 17                                 // 00000000D6F4: D2890052 00012303
	s_and_b32 s82, s82, 0xffffff                               // 00000000D6FC: 8652FF52 00FFFFFF
	s_cmp_lt_u32 s82, s66                                      // 00000000D704: BF0A4252
	s_cselect_b32 s21, s36, s60                                // 00000000D708: 85153C24
	s_mov_b64 exec, s[20:21]                                   // 00000000D70C: BEFE0114
	global_atomic_add_f32 v6, v102, s[8:9] offset:8            // 00000000D710: DD348008 00086606
	global_atomic_add_f32 v6, v106, s[8:9] offset:264          // 00000000D718: DD348108 00086A06
	s_mov_b64 exec, s[36:37]                                   // 00000000D720: BEFE0124
	v_mov_b32_e32 v6, v63                                      // 00000000D724: 7E0C033F
	s_mov_b64 s[60:61], 0                                      // 00000000D728: BEBC0180
	v_readlane_b32 s82, v3, 18                                 // 00000000D72C: D2890052 00012503
	s_and_b32 s82, s82, 0xffffff                               // 00000000D734: 8652FF52 00FFFFFF
	s_cmp_lt_u32 s82, s66                                      // 00000000D73C: BF0A4252
	s_cselect_b32 s20, s36, s60                                // 00000000D740: 85143C24
	v_readlane_b32 s82, v3, 19                                 // 00000000D744: D2890052 00012703
	s_and_b32 s82, s82, 0xffffff                               // 00000000D74C: 8652FF52 00FFFFFF
	s_cmp_lt_u32 s82, s66                                      // 00000000D754: BF0A4252
	s_cselect_b32 s21, s36, s60                                // 00000000D758: 85153C24
	s_mov_b64 exec, s[20:21]                                   // 00000000D75C: BEFE0114
	global_atomic_add_f32 v6, v103, s[8:9] offset:8            // 00000000D760: DD348008 00086706
	global_atomic_add_f32 v6, v107, s[8:9] offset:264          // 00000000D768: DD348108 00086B06
	s_mov_b64 exec, s[36:37]                                   // 00000000D770: BEFE0124
	v_mov_b32_e32 v6, v64                                      // 00000000D774: 7E0C0340
	s_mov_b64 s[60:61], 0                                      // 00000000D778: BEBC0180
	v_readlane_b32 s82, v3, 20                                 // 00000000D77C: D2890052 00012903
	s_and_b32 s82, s82, 0xffffff                               // 00000000D784: 8652FF52 00FFFFFF
	s_cmp_lt_u32 s82, s66                                      // 00000000D78C: BF0A4252
	s_cselect_b32 s20, s36, s60                                // 00000000D790: 85143C24
	v_readlane_b32 s82, v3, 21                                 // 00000000D794: D2890052 00012B03
	s_and_b32 s82, s82, 0xffffff                               // 00000000D79C: 8652FF52 00FFFFFF
	s_cmp_lt_u32 s82, s66                                      // 00000000D7A4: BF0A4252
	s_cselect_b32 s21, s36, s60                                // 00000000D7A8: 85153C24
	s_mov_b64 exec, s[20:21]                                   // 00000000D7AC: BEFE0114
	global_atomic_add_f32 v6, v110, s[8:9] offset:8            // 00000000D7B0: DD348008 00086E06
	global_atomic_add_f32 v6, v114, s[8:9] offset:264          // 00000000D7B8: DD348108 00087206
	s_mov_b64 exec, s[36:37]                                   // 00000000D7C0: BEFE0124
	v_mov_b32_e32 v6, v65                                      // 00000000D7C4: 7E0C0341
	s_mov_b64 s[60:61], 0                                      // 00000000D7C8: BEBC0180
	v_readlane_b32 s82, v3, 22                                 // 00000000D7CC: D2890052 00012D03
	s_and_b32 s82, s82, 0xffffff                               // 00000000D7D4: 8652FF52 00FFFFFF
	s_cmp_lt_u32 s82, s66                                      // 00000000D7DC: BF0A4252
	s_cselect_b32 s20, s36, s60                                // 00000000D7E0: 85143C24
	v_readlane_b32 s82, v3, 23                                 // 00000000D7E4: D2890052 00012F03
	s_and_b32 s82, s82, 0xffffff                               // 00000000D7EC: 8652FF52 00FFFFFF
	s_cmp_lt_u32 s82, s66                                      // 00000000D7F4: BF0A4252
	s_cselect_b32 s21, s36, s60                                // 00000000D7F8: 85153C24
	s_mov_b64 exec, s[20:21]                                   // 00000000D7FC: BEFE0114
	global_atomic_add_f32 v6, v111, s[8:9] offset:8            // 00000000D800: DD348008 00086F06
	global_atomic_add_f32 v6, v115, s[8:9] offset:264          // 00000000D808: DD348108 00087306
	s_mov_b64 exec, s[36:37]                                   // 00000000D810: BEFE0124
	ds_write_b64 v20, v[116:117]                               // 00000000D814: D89A0000 00007414
	ds_write_b64 v20, v[120:121] offset:4352                   // 00000000D81C: D89A1100 00007814
	ds_write_b64 v20, v[124:125] offset:8704                   // 00000000D824: D89A2200 00007C14
	ds_write_b64 v20, v[128:129] offset:13056                  // 00000000D82C: D89A3300 00008014
	ds_write_b64 v20, v[132:133] offset:17408                  // 00000000D834: D89A4400 00008414
	ds_write_b64 v20, v[136:137] offset:21760                  // 00000000D83C: D89A5500 00008814
	ds_write_b64 v20, v[140:141] offset:2176                   // 00000000D844: D89A0880 00008C14
	ds_write_b64 v20, v[144:145] offset:6528                   // 00000000D84C: D89A1980 00009014
	ds_write_b64 v20, v[148:149] offset:10880                  // 00000000D854: D89A2A80 00009414
	ds_write_b64 v20, v[152:153] offset:15232                  // 00000000D85C: D89A3B80 00009814
	ds_write_b64 v20, v[156:157] offset:19584                  // 00000000D864: D89A4C80 00009C14
	ds_write_b64 v20, v[160:161] offset:23936                  // 00000000D86C: D89A5D80 0000A014
	s_waitcnt lgkmcnt(0)                                       // 00000000D874: BF8CC07F
	s_barrier                                                  // 00000000D878: BF8A0000
	ds_read_b32 v116, v21                                      // 00000000D87C: D86C0000 74000015
	ds_read_b32 v117, v21 offset:64                            // 00000000D884: D86C0040 75000015
	ds_read_b32 v120, v21 offset:2176                          // 00000000D88C: D86C0880 78000015
	ds_read_b32 v121, v21 offset:2240                          // 00000000D894: D86C08C0 79000015
	ds_read_b32 v124, v21 offset:4352                          // 00000000D89C: D86C1100 7C000015
	ds_read_b32 v125, v21 offset:4416                          // 00000000D8A4: D86C1140 7D000015
	ds_read_b32 v128, v21 offset:6528                          // 00000000D8AC: D86C1980 80000015
	ds_read_b32 v129, v21 offset:6592                          // 00000000D8B4: D86C19C0 81000015
	ds_read_b32 v132, v21 offset:8704                          // 00000000D8BC: D86C2200 84000015
	ds_read_b32 v133, v21 offset:8768                          // 00000000D8C4: D86C2240 85000015
	ds_read_b32 v136, v21 offset:10880                         // 00000000D8CC: D86C2A80 88000015
	ds_read_b32 v137, v21 offset:10944                         // 00000000D8D4: D86C2AC0 89000015
	ds_read_b32 v140, v21 offset:13056                         // 00000000D8DC: D86C3300 8C000015
	ds_read_b32 v141, v21 offset:13120                         // 00000000D8E4: D86C3340 8D000015
	ds_read_b32 v144, v21 offset:15232                         // 00000000D8EC: D86C3B80 90000015
	ds_read_b32 v145, v21 offset:15296                         // 00000000D8F4: D86C3BC0 91000015
	ds_read_b32 v148, v21 offset:17408                         // 00000000D8FC: D86C4400 94000015
	ds_read_b32 v149, v21 offset:17472                         // 00000000D904: D86C4440 95000015
	ds_read_b32 v152, v21 offset:19584                         // 00000000D90C: D86C4C80 98000015
	ds_read_b32 v153, v21 offset:19648                         // 00000000D914: D86C4CC0 99000015
	ds_read_b32 v156, v21 offset:21760                         // 00000000D91C: D86C5500 9C000015
	ds_read_b32 v157, v21 offset:21824                         // 00000000D924: D86C5540 9D000015
	ds_read_b32 v160, v21 offset:23936                         // 00000000D92C: D86C5D80 A0000015
	ds_read_b32 v161, v21 offset:24000                         // 00000000D934: D86C5DC0 A1000015
	s_mul_i32 s60, s65, 4                                      // 00000000D93C: 923C8441
	s_add_u32 s8, s60, s8                                      // 00000000D940: 8008083C
	s_addc_u32 s9, 0, s9                                       // 00000000D944: 82090980
	s_waitcnt lgkmcnt(0)                                       // 00000000D948: BF8CC07F
	v_mov_b32_e32 v7, 0                                        // 00000000D94C: 7E0E0280
	s_mov_b64 exec, s[36:37]                                   // 00000000D950: BEFE0124
	v_mov_b32_e32 v6, v54                                      // 00000000D954: 7E0C0336
	s_mov_b64 s[60:61], 0                                      // 00000000D958: BEBC0180
	v_readlane_b32 s82, v3, 0                                  // 00000000D95C: D2890052 00010103
	s_and_b32 s82, s82, 0xffffff                               // 00000000D964: 8652FF52 00FFFFFF
	s_cmp_lt_u32 s82, s66                                      // 00000000D96C: BF0A4252
	s_cselect_b32 s20, s36, s60                                // 00000000D970: 85143C24
	v_readlane_b32 s82, v3, 1                                  // 00000000D974: D2890052 00010303
	s_and_b32 s82, s82, 0xffffff                               // 00000000D97C: 8652FF52 00FFFFFF
	s_cmp_lt_u32 s82, s66                                      // 00000000D984: BF0A4252
	s_cselect_b32 s21, s36, s60                                // 00000000D988: 85153C24
	s_mov_b64 exec, s[20:21]                                   // 00000000D98C: BEFE0114
	global_atomic_add_f32 v6, v116, s[8:9]                     // 00000000D990: DD348000 00087406
	global_atomic_add_f32 v6, v120, s[8:9] offset:256          // 00000000D998: DD348100 00087806
	s_mov_b64 exec, s[36:37]                                   // 00000000D9A0: BEFE0124
	v_mov_b32_e32 v6, v55                                      // 00000000D9A4: 7E0C0337
	s_mov_b64 s[60:61], 0                                      // 00000000D9A8: BEBC0180
	v_readlane_b32 s82, v3, 2                                  // 00000000D9AC: D2890052 00010503
	s_and_b32 s82, s82, 0xffffff                               // 00000000D9B4: 8652FF52 00FFFFFF
	s_cmp_lt_u32 s82, s66                                      // 00000000D9BC: BF0A4252
	s_cselect_b32 s20, s36, s60                                // 00000000D9C0: 85143C24
	v_readlane_b32 s82, v3, 3                                  // 00000000D9C4: D2890052 00010703
	s_and_b32 s82, s82, 0xffffff                               // 00000000D9CC: 8652FF52 00FFFFFF
	s_cmp_lt_u32 s82, s66                                      // 00000000D9D4: BF0A4252
	s_cselect_b32 s21, s36, s60                                // 00000000D9D8: 85153C24
	s_mov_b64 exec, s[20:21]                                   // 00000000D9DC: BEFE0114
	global_atomic_add_f32 v6, v117, s[8:9]                     // 00000000D9E0: DD348000 00087506
	global_atomic_add_f32 v6, v121, s[8:9] offset:256          // 00000000D9E8: DD348100 00087906
	s_mov_b64 exec, s[36:37]                                   // 00000000D9F0: BEFE0124
	v_mov_b32_e32 v6, v56                                      // 00000000D9F4: 7E0C0338
	s_mov_b64 s[60:61], 0                                      // 00000000D9F8: BEBC0180
	v_readlane_b32 s82, v3, 4                                  // 00000000D9FC: D2890052 00010903
	s_and_b32 s82, s82, 0xffffff                               // 00000000DA04: 8652FF52 00FFFFFF
	s_cmp_lt_u32 s82, s66                                      // 00000000DA0C: BF0A4252
	s_cselect_b32 s20, s36, s60                                // 00000000DA10: 85143C24
	v_readlane_b32 s82, v3, 5                                  // 00000000DA14: D2890052 00010B03
	s_and_b32 s82, s82, 0xffffff                               // 00000000DA1C: 8652FF52 00FFFFFF
	s_cmp_lt_u32 s82, s66                                      // 00000000DA24: BF0A4252
	s_cselect_b32 s21, s36, s60                                // 00000000DA28: 85153C24
	s_mov_b64 exec, s[20:21]                                   // 00000000DA2C: BEFE0114
	global_atomic_add_f32 v6, v124, s[8:9]                     // 00000000DA30: DD348000 00087C06
	global_atomic_add_f32 v6, v128, s[8:9] offset:256          // 00000000DA38: DD348100 00088006
	s_mov_b64 exec, s[36:37]                                   // 00000000DA40: BEFE0124
	v_mov_b32_e32 v6, v57                                      // 00000000DA44: 7E0C0339
	s_mov_b64 s[60:61], 0                                      // 00000000DA48: BEBC0180
	v_readlane_b32 s82, v3, 6                                  // 00000000DA4C: D2890052 00010D03
	s_and_b32 s82, s82, 0xffffff                               // 00000000DA54: 8652FF52 00FFFFFF
	s_cmp_lt_u32 s82, s66                                      // 00000000DA5C: BF0A4252
	s_cselect_b32 s20, s36, s60                                // 00000000DA60: 85143C24
	v_readlane_b32 s82, v3, 7                                  // 00000000DA64: D2890052 00010F03
	s_and_b32 s82, s82, 0xffffff                               // 00000000DA6C: 8652FF52 00FFFFFF
	s_cmp_lt_u32 s82, s66                                      // 00000000DA74: BF0A4252
	s_cselect_b32 s21, s36, s60                                // 00000000DA78: 85153C24
	s_mov_b64 exec, s[20:21]                                   // 00000000DA7C: BEFE0114
	global_atomic_add_f32 v6, v125, s[8:9]                     // 00000000DA80: DD348000 00087D06
	global_atomic_add_f32 v6, v129, s[8:9] offset:256          // 00000000DA88: DD348100 00088106
	s_mov_b64 exec, s[36:37]                                   // 00000000DA90: BEFE0124
	v_mov_b32_e32 v6, v58                                      // 00000000DA94: 7E0C033A
	s_mov_b64 s[60:61], 0                                      // 00000000DA98: BEBC0180
	v_readlane_b32 s82, v3, 8                                  // 00000000DA9C: D2890052 00011103
	s_and_b32 s82, s82, 0xffffff                               // 00000000DAA4: 8652FF52 00FFFFFF
	s_cmp_lt_u32 s82, s66                                      // 00000000DAAC: BF0A4252
	s_cselect_b32 s20, s36, s60                                // 00000000DAB0: 85143C24
	v_readlane_b32 s82, v3, 9                                  // 00000000DAB4: D2890052 00011303
	s_and_b32 s82, s82, 0xffffff                               // 00000000DABC: 8652FF52 00FFFFFF
	s_cmp_lt_u32 s82, s66                                      // 00000000DAC4: BF0A4252
	s_cselect_b32 s21, s36, s60                                // 00000000DAC8: 85153C24
	s_mov_b64 exec, s[20:21]                                   // 00000000DACC: BEFE0114
	global_atomic_add_f32 v6, v132, s[8:9]                     // 00000000DAD0: DD348000 00088406
	global_atomic_add_f32 v6, v136, s[8:9] offset:256          // 00000000DAD8: DD348100 00088806
	s_mov_b64 exec, s[36:37]                                   // 00000000DAE0: BEFE0124
	v_mov_b32_e32 v6, v59                                      // 00000000DAE4: 7E0C033B
	s_mov_b64 s[60:61], 0                                      // 00000000DAE8: BEBC0180
	v_readlane_b32 s82, v3, 10                                 // 00000000DAEC: D2890052 00011503
	s_and_b32 s82, s82, 0xffffff                               // 00000000DAF4: 8652FF52 00FFFFFF
	s_cmp_lt_u32 s82, s66                                      // 00000000DAFC: BF0A4252
	s_cselect_b32 s20, s36, s60                                // 00000000DB00: 85143C24
	v_readlane_b32 s82, v3, 11                                 // 00000000DB04: D2890052 00011703
	s_and_b32 s82, s82, 0xffffff                               // 00000000DB0C: 8652FF52 00FFFFFF
	s_cmp_lt_u32 s82, s66                                      // 00000000DB14: BF0A4252
	s_cselect_b32 s21, s36, s60                                // 00000000DB18: 85153C24
	s_mov_b64 exec, s[20:21]                                   // 00000000DB1C: BEFE0114
	global_atomic_add_f32 v6, v133, s[8:9]                     // 00000000DB20: DD348000 00088506
	global_atomic_add_f32 v6, v137, s[8:9] offset:256          // 00000000DB28: DD348100 00088906
	s_mov_b64 exec, s[36:37]                                   // 00000000DB30: BEFE0124
	v_mov_b32_e32 v6, v60                                      // 00000000DB34: 7E0C033C
	s_mov_b64 s[60:61], 0                                      // 00000000DB38: BEBC0180
	v_readlane_b32 s82, v3, 12                                 // 00000000DB3C: D2890052 00011903
	s_and_b32 s82, s82, 0xffffff                               // 00000000DB44: 8652FF52 00FFFFFF
	s_cmp_lt_u32 s82, s66                                      // 00000000DB4C: BF0A4252
	s_cselect_b32 s20, s36, s60                                // 00000000DB50: 85143C24
	v_readlane_b32 s82, v3, 13                                 // 00000000DB54: D2890052 00011B03
	s_and_b32 s82, s82, 0xffffff                               // 00000000DB5C: 8652FF52 00FFFFFF
	s_cmp_lt_u32 s82, s66                                      // 00000000DB64: BF0A4252
	s_cselect_b32 s21, s36, s60                                // 00000000DB68: 85153C24
	s_mov_b64 exec, s[20:21]                                   // 00000000DB6C: BEFE0114
	global_atomic_add_f32 v6, v140, s[8:9]                     // 00000000DB70: DD348000 00088C06
	global_atomic_add_f32 v6, v144, s[8:9] offset:256          // 00000000DB78: DD348100 00089006
	s_mov_b64 exec, s[36:37]                                   // 00000000DB80: BEFE0124
	v_mov_b32_e32 v6, v61                                      // 00000000DB84: 7E0C033D
	s_mov_b64 s[60:61], 0                                      // 00000000DB88: BEBC0180
	v_readlane_b32 s82, v3, 14                                 // 00000000DB8C: D2890052 00011D03
	s_and_b32 s82, s82, 0xffffff                               // 00000000DB94: 8652FF52 00FFFFFF
	s_cmp_lt_u32 s82, s66                                      // 00000000DB9C: BF0A4252
	s_cselect_b32 s20, s36, s60                                // 00000000DBA0: 85143C24
	v_readlane_b32 s82, v3, 15                                 // 00000000DBA4: D2890052 00011F03
	s_and_b32 s82, s82, 0xffffff                               // 00000000DBAC: 8652FF52 00FFFFFF
	s_cmp_lt_u32 s82, s66                                      // 00000000DBB4: BF0A4252
	s_cselect_b32 s21, s36, s60                                // 00000000DBB8: 85153C24
	s_mov_b64 exec, s[20:21]                                   // 00000000DBBC: BEFE0114
	global_atomic_add_f32 v6, v141, s[8:9]                     // 00000000DBC0: DD348000 00088D06
	global_atomic_add_f32 v6, v145, s[8:9] offset:256          // 00000000DBC8: DD348100 00089106
	s_mov_b64 exec, s[36:37]                                   // 00000000DBD0: BEFE0124
	v_mov_b32_e32 v6, v62                                      // 00000000DBD4: 7E0C033E
	s_mov_b64 s[60:61], 0                                      // 00000000DBD8: BEBC0180
	v_readlane_b32 s82, v3, 16                                 // 00000000DBDC: D2890052 00012103
	s_and_b32 s82, s82, 0xffffff                               // 00000000DBE4: 8652FF52 00FFFFFF
	s_cmp_lt_u32 s82, s66                                      // 00000000DBEC: BF0A4252
	s_cselect_b32 s20, s36, s60                                // 00000000DBF0: 85143C24
	v_readlane_b32 s82, v3, 17                                 // 00000000DBF4: D2890052 00012303
	s_and_b32 s82, s82, 0xffffff                               // 00000000DBFC: 8652FF52 00FFFFFF
	s_cmp_lt_u32 s82, s66                                      // 00000000DC04: BF0A4252
	s_cselect_b32 s21, s36, s60                                // 00000000DC08: 85153C24
	s_mov_b64 exec, s[20:21]                                   // 00000000DC0C: BEFE0114
	global_atomic_add_f32 v6, v148, s[8:9]                     // 00000000DC10: DD348000 00089406
	global_atomic_add_f32 v6, v152, s[8:9] offset:256          // 00000000DC18: DD348100 00089806
	s_mov_b64 exec, s[36:37]                                   // 00000000DC20: BEFE0124
	v_mov_b32_e32 v6, v63                                      // 00000000DC24: 7E0C033F
	s_mov_b64 s[60:61], 0                                      // 00000000DC28: BEBC0180
	v_readlane_b32 s82, v3, 18                                 // 00000000DC2C: D2890052 00012503
	s_and_b32 s82, s82, 0xffffff                               // 00000000DC34: 8652FF52 00FFFFFF
	s_cmp_lt_u32 s82, s66                                      // 00000000DC3C: BF0A4252
	s_cselect_b32 s20, s36, s60                                // 00000000DC40: 85143C24
	v_readlane_b32 s82, v3, 19                                 // 00000000DC44: D2890052 00012703
	s_and_b32 s82, s82, 0xffffff                               // 00000000DC4C: 8652FF52 00FFFFFF
	s_cmp_lt_u32 s82, s66                                      // 00000000DC54: BF0A4252
	s_cselect_b32 s21, s36, s60                                // 00000000DC58: 85153C24
	s_mov_b64 exec, s[20:21]                                   // 00000000DC5C: BEFE0114
	global_atomic_add_f32 v6, v149, s[8:9]                     // 00000000DC60: DD348000 00089506
	global_atomic_add_f32 v6, v153, s[8:9] offset:256          // 00000000DC68: DD348100 00089906
	s_mov_b64 exec, s[36:37]                                   // 00000000DC70: BEFE0124
	v_mov_b32_e32 v6, v64                                      // 00000000DC74: 7E0C0340
	s_mov_b64 s[60:61], 0                                      // 00000000DC78: BEBC0180
	v_readlane_b32 s82, v3, 20                                 // 00000000DC7C: D2890052 00012903
	s_and_b32 s82, s82, 0xffffff                               // 00000000DC84: 8652FF52 00FFFFFF
	s_cmp_lt_u32 s82, s66                                      // 00000000DC8C: BF0A4252
	s_cselect_b32 s20, s36, s60                                // 00000000DC90: 85143C24
	v_readlane_b32 s82, v3, 21                                 // 00000000DC94: D2890052 00012B03
	s_and_b32 s82, s82, 0xffffff                               // 00000000DC9C: 8652FF52 00FFFFFF
	s_cmp_lt_u32 s82, s66                                      // 00000000DCA4: BF0A4252
	s_cselect_b32 s21, s36, s60                                // 00000000DCA8: 85153C24
	s_mov_b64 exec, s[20:21]                                   // 00000000DCAC: BEFE0114
	global_atomic_add_f32 v6, v156, s[8:9]                     // 00000000DCB0: DD348000 00089C06
	global_atomic_add_f32 v6, v160, s[8:9] offset:256          // 00000000DCB8: DD348100 0008A006
	s_mov_b64 exec, s[36:37]                                   // 00000000DCC0: BEFE0124
	v_mov_b32_e32 v6, v65                                      // 00000000DCC4: 7E0C0341
	s_mov_b64 s[60:61], 0                                      // 00000000DCC8: BEBC0180
	v_readlane_b32 s82, v3, 22                                 // 00000000DCCC: D2890052 00012D03
	s_and_b32 s82, s82, 0xffffff                               // 00000000DCD4: 8652FF52 00FFFFFF
	s_cmp_lt_u32 s82, s66                                      // 00000000DCDC: BF0A4252
	s_cselect_b32 s20, s36, s60                                // 00000000DCE0: 85143C24
	v_readlane_b32 s82, v3, 23                                 // 00000000DCE4: D2890052 00012F03
	s_and_b32 s82, s82, 0xffffff                               // 00000000DCEC: 8652FF52 00FFFFFF
	s_cmp_lt_u32 s82, s66                                      // 00000000DCF4: BF0A4252
	s_cselect_b32 s21, s36, s60                                // 00000000DCF8: 85153C24
	s_mov_b64 exec, s[20:21]                                   // 00000000DCFC: BEFE0114
	global_atomic_add_f32 v6, v157, s[8:9]                     // 00000000DD00: DD348000 00089D06
	global_atomic_add_f32 v6, v161, s[8:9] offset:256          // 00000000DD08: DD348100 0008A106
	s_mov_b64 exec, s[36:37]                                   // 00000000DD10: BEFE0124
	ds_write_b64 v20, v[118:119]                               // 00000000DD14: D89A0000 00007614
	ds_write_b64 v20, v[122:123] offset:4352                   // 00000000DD1C: D89A1100 00007A14
	ds_write_b64 v20, v[126:127] offset:8704                   // 00000000DD24: D89A2200 00007E14
	ds_write_b64 v20, v[130:131] offset:13056                  // 00000000DD2C: D89A3300 00008214
	ds_write_b64 v20, v[134:135] offset:17408                  // 00000000DD34: D89A4400 00008614
	ds_write_b64 v20, v[138:139] offset:21760                  // 00000000DD3C: D89A5500 00008A14
	ds_write_b64 v20, v[142:143] offset:2176                   // 00000000DD44: D89A0880 00008E14
	ds_write_b64 v20, v[146:147] offset:6528                   // 00000000DD4C: D89A1980 00009214
	ds_write_b64 v20, v[150:151] offset:10880                  // 00000000DD54: D89A2A80 00009614
	ds_write_b64 v20, v[154:155] offset:15232                  // 00000000DD5C: D89A3B80 00009A14
	ds_write_b64 v20, v[158:159] offset:19584                  // 00000000DD64: D89A4C80 00009E14
	ds_write_b64 v20, v[162:163] offset:23936                  // 00000000DD6C: D89A5D80 0000A214
	s_waitcnt lgkmcnt(0)                                       // 00000000DD74: BF8CC07F
	s_barrier                                                  // 00000000DD78: BF8A0000
	ds_read_b32 v118, v21                                      // 00000000DD7C: D86C0000 76000015
	ds_read_b32 v119, v21 offset:64                            // 00000000DD84: D86C0040 77000015
	ds_read_b32 v122, v21 offset:2176                          // 00000000DD8C: D86C0880 7A000015
	ds_read_b32 v123, v21 offset:2240                          // 00000000DD94: D86C08C0 7B000015
	ds_read_b32 v126, v21 offset:4352                          // 00000000DD9C: D86C1100 7E000015
	ds_read_b32 v127, v21 offset:4416                          // 00000000DDA4: D86C1140 7F000015
	ds_read_b32 v130, v21 offset:6528                          // 00000000DDAC: D86C1980 82000015
	ds_read_b32 v131, v21 offset:6592                          // 00000000DDB4: D86C19C0 83000015
	ds_read_b32 v134, v21 offset:8704                          // 00000000DDBC: D86C2200 86000015
	ds_read_b32 v135, v21 offset:8768                          // 00000000DDC4: D86C2240 87000015
	ds_read_b32 v138, v21 offset:10880                         // 00000000DDCC: D86C2A80 8A000015
	ds_read_b32 v139, v21 offset:10944                         // 00000000DDD4: D86C2AC0 8B000015
	ds_read_b32 v142, v21 offset:13056                         // 00000000DDDC: D86C3300 8E000015
	ds_read_b32 v143, v21 offset:13120                         // 00000000DDE4: D86C3340 8F000015
	ds_read_b32 v146, v21 offset:15232                         // 00000000DDEC: D86C3B80 92000015
	ds_read_b32 v147, v21 offset:15296                         // 00000000DDF4: D86C3BC0 93000015
	ds_read_b32 v150, v21 offset:17408                         // 00000000DDFC: D86C4400 96000015
	ds_read_b32 v151, v21 offset:17472                         // 00000000DE04: D86C4440 97000015
	ds_read_b32 v154, v21 offset:19584                         // 00000000DE0C: D86C4C80 9A000015
	ds_read_b32 v155, v21 offset:19648                         // 00000000DE14: D86C4CC0 9B000015
	ds_read_b32 v158, v21 offset:21760                         // 00000000DE1C: D86C5500 9E000015
	ds_read_b32 v159, v21 offset:21824                         // 00000000DE24: D86C5540 9F000015
	ds_read_b32 v162, v21 offset:23936                         // 00000000DE2C: D86C5D80 A2000015
	ds_read_b32 v163, v21 offset:24000                         // 00000000DE34: D86C5DC0 A3000015
	s_waitcnt lgkmcnt(0)                                       // 00000000DE3C: BF8CC07F
	v_mov_b32_e32 v7, 0                                        // 00000000DE40: 7E0E0280
	s_mov_b64 exec, s[36:37]                                   // 00000000DE44: BEFE0124
	v_mov_b32_e32 v6, v54                                      // 00000000DE48: 7E0C0336
	s_mov_b64 s[60:61], 0                                      // 00000000DE4C: BEBC0180
	v_readlane_b32 s82, v3, 0                                  // 00000000DE50: D2890052 00010103
	s_and_b32 s82, s82, 0xffffff                               // 00000000DE58: 8652FF52 00FFFFFF
	s_cmp_lt_u32 s82, s66                                      // 00000000DE60: BF0A4252
	s_cselect_b32 s20, s36, s60                                // 00000000DE64: 85143C24
	v_readlane_b32 s82, v3, 1                                  // 00000000DE68: D2890052 00010303
	s_and_b32 s82, s82, 0xffffff                               // 00000000DE70: 8652FF52 00FFFFFF
	s_cmp_lt_u32 s82, s66                                      // 00000000DE78: BF0A4252
	s_cselect_b32 s21, s36, s60                                // 00000000DE7C: 85153C24
	s_mov_b64 exec, s[20:21]                                   // 00000000DE80: BEFE0114
	global_atomic_add_f32 v6, v118, s[8:9] offset:8            // 00000000DE84: DD348008 00087606
	global_atomic_add_f32 v6, v122, s[8:9] offset:264          // 00000000DE8C: DD348108 00087A06
	s_mov_b64 exec, s[36:37]                                   // 00000000DE94: BEFE0124
	v_mov_b32_e32 v6, v55                                      // 00000000DE98: 7E0C0337
	s_mov_b64 s[60:61], 0                                      // 00000000DE9C: BEBC0180
	v_readlane_b32 s82, v3, 2                                  // 00000000DEA0: D2890052 00010503
	s_and_b32 s82, s82, 0xffffff                               // 00000000DEA8: 8652FF52 00FFFFFF
	s_cmp_lt_u32 s82, s66                                      // 00000000DEB0: BF0A4252
	s_cselect_b32 s20, s36, s60                                // 00000000DEB4: 85143C24
	v_readlane_b32 s82, v3, 3                                  // 00000000DEB8: D2890052 00010703
	s_and_b32 s82, s82, 0xffffff                               // 00000000DEC0: 8652FF52 00FFFFFF
	s_cmp_lt_u32 s82, s66                                      // 00000000DEC8: BF0A4252
	s_cselect_b32 s21, s36, s60                                // 00000000DECC: 85153C24
	s_mov_b64 exec, s[20:21]                                   // 00000000DED0: BEFE0114
	global_atomic_add_f32 v6, v119, s[8:9] offset:8            // 00000000DED4: DD348008 00087706
	global_atomic_add_f32 v6, v123, s[8:9] offset:264          // 00000000DEDC: DD348108 00087B06
	s_mov_b64 exec, s[36:37]                                   // 00000000DEE4: BEFE0124
	v_mov_b32_e32 v6, v56                                      // 00000000DEE8: 7E0C0338
	s_mov_b64 s[60:61], 0                                      // 00000000DEEC: BEBC0180
	v_readlane_b32 s82, v3, 4                                  // 00000000DEF0: D2890052 00010903
	s_and_b32 s82, s82, 0xffffff                               // 00000000DEF8: 8652FF52 00FFFFFF
	s_cmp_lt_u32 s82, s66                                      // 00000000DF00: BF0A4252
	s_cselect_b32 s20, s36, s60                                // 00000000DF04: 85143C24
	v_readlane_b32 s82, v3, 5                                  // 00000000DF08: D2890052 00010B03
	s_and_b32 s82, s82, 0xffffff                               // 00000000DF10: 8652FF52 00FFFFFF
	s_cmp_lt_u32 s82, s66                                      // 00000000DF18: BF0A4252
	s_cselect_b32 s21, s36, s60                                // 00000000DF1C: 85153C24
	s_mov_b64 exec, s[20:21]                                   // 00000000DF20: BEFE0114
	global_atomic_add_f32 v6, v126, s[8:9] offset:8            // 00000000DF24: DD348008 00087E06
	global_atomic_add_f32 v6, v130, s[8:9] offset:264          // 00000000DF2C: DD348108 00088206
	s_mov_b64 exec, s[36:37]                                   // 00000000DF34: BEFE0124
	v_mov_b32_e32 v6, v57                                      // 00000000DF38: 7E0C0339
	s_mov_b64 s[60:61], 0                                      // 00000000DF3C: BEBC0180
	v_readlane_b32 s82, v3, 6                                  // 00000000DF40: D2890052 00010D03
	s_and_b32 s82, s82, 0xffffff                               // 00000000DF48: 8652FF52 00FFFFFF
	s_cmp_lt_u32 s82, s66                                      // 00000000DF50: BF0A4252
	s_cselect_b32 s20, s36, s60                                // 00000000DF54: 85143C24
	v_readlane_b32 s82, v3, 7                                  // 00000000DF58: D2890052 00010F03
	s_and_b32 s82, s82, 0xffffff                               // 00000000DF60: 8652FF52 00FFFFFF
	s_cmp_lt_u32 s82, s66                                      // 00000000DF68: BF0A4252
	s_cselect_b32 s21, s36, s60                                // 00000000DF6C: 85153C24
	s_mov_b64 exec, s[20:21]                                   // 00000000DF70: BEFE0114
	global_atomic_add_f32 v6, v127, s[8:9] offset:8            // 00000000DF74: DD348008 00087F06
	global_atomic_add_f32 v6, v131, s[8:9] offset:264          // 00000000DF7C: DD348108 00088306
	s_mov_b64 exec, s[36:37]                                   // 00000000DF84: BEFE0124
	v_mov_b32_e32 v6, v58                                      // 00000000DF88: 7E0C033A
	s_mov_b64 s[60:61], 0                                      // 00000000DF8C: BEBC0180
	v_readlane_b32 s82, v3, 8                                  // 00000000DF90: D2890052 00011103
	s_and_b32 s82, s82, 0xffffff                               // 00000000DF98: 8652FF52 00FFFFFF
	s_cmp_lt_u32 s82, s66                                      // 00000000DFA0: BF0A4252
	s_cselect_b32 s20, s36, s60                                // 00000000DFA4: 85143C24
	v_readlane_b32 s82, v3, 9                                  // 00000000DFA8: D2890052 00011303
	s_and_b32 s82, s82, 0xffffff                               // 00000000DFB0: 8652FF52 00FFFFFF
	s_cmp_lt_u32 s82, s66                                      // 00000000DFB8: BF0A4252
	s_cselect_b32 s21, s36, s60                                // 00000000DFBC: 85153C24
	s_mov_b64 exec, s[20:21]                                   // 00000000DFC0: BEFE0114
	global_atomic_add_f32 v6, v134, s[8:9] offset:8            // 00000000DFC4: DD348008 00088606
	global_atomic_add_f32 v6, v138, s[8:9] offset:264          // 00000000DFCC: DD348108 00088A06
	s_mov_b64 exec, s[36:37]                                   // 00000000DFD4: BEFE0124
	v_mov_b32_e32 v6, v59                                      // 00000000DFD8: 7E0C033B
	s_mov_b64 s[60:61], 0                                      // 00000000DFDC: BEBC0180
	v_readlane_b32 s82, v3, 10                                 // 00000000DFE0: D2890052 00011503
	s_and_b32 s82, s82, 0xffffff                               // 00000000DFE8: 8652FF52 00FFFFFF
	s_cmp_lt_u32 s82, s66                                      // 00000000DFF0: BF0A4252
	s_cselect_b32 s20, s36, s60                                // 00000000DFF4: 85143C24
	v_readlane_b32 s82, v3, 11                                 // 00000000DFF8: D2890052 00011703
	s_and_b32 s82, s82, 0xffffff                               // 00000000E000: 8652FF52 00FFFFFF
	s_cmp_lt_u32 s82, s66                                      // 00000000E008: BF0A4252
	s_cselect_b32 s21, s36, s60                                // 00000000E00C: 85153C24
	s_mov_b64 exec, s[20:21]                                   // 00000000E010: BEFE0114
	global_atomic_add_f32 v6, v135, s[8:9] offset:8            // 00000000E014: DD348008 00088706
	global_atomic_add_f32 v6, v139, s[8:9] offset:264          // 00000000E01C: DD348108 00088B06
	s_mov_b64 exec, s[36:37]                                   // 00000000E024: BEFE0124
	v_mov_b32_e32 v6, v60                                      // 00000000E028: 7E0C033C
	s_mov_b64 s[60:61], 0                                      // 00000000E02C: BEBC0180
	v_readlane_b32 s82, v3, 12                                 // 00000000E030: D2890052 00011903
	s_and_b32 s82, s82, 0xffffff                               // 00000000E038: 8652FF52 00FFFFFF
	s_cmp_lt_u32 s82, s66                                      // 00000000E040: BF0A4252
	s_cselect_b32 s20, s36, s60                                // 00000000E044: 85143C24
	v_readlane_b32 s82, v3, 13                                 // 00000000E048: D2890052 00011B03
	s_and_b32 s82, s82, 0xffffff                               // 00000000E050: 8652FF52 00FFFFFF
	s_cmp_lt_u32 s82, s66                                      // 00000000E058: BF0A4252
	s_cselect_b32 s21, s36, s60                                // 00000000E05C: 85153C24
	s_mov_b64 exec, s[20:21]                                   // 00000000E060: BEFE0114
	global_atomic_add_f32 v6, v142, s[8:9] offset:8            // 00000000E064: DD348008 00088E06
	global_atomic_add_f32 v6, v146, s[8:9] offset:264          // 00000000E06C: DD348108 00089206
	s_mov_b64 exec, s[36:37]                                   // 00000000E074: BEFE0124
	v_mov_b32_e32 v6, v61                                      // 00000000E078: 7E0C033D
	s_mov_b64 s[60:61], 0                                      // 00000000E07C: BEBC0180
	v_readlane_b32 s82, v3, 14                                 // 00000000E080: D2890052 00011D03
	s_and_b32 s82, s82, 0xffffff                               // 00000000E088: 8652FF52 00FFFFFF
	s_cmp_lt_u32 s82, s66                                      // 00000000E090: BF0A4252
	s_cselect_b32 s20, s36, s60                                // 00000000E094: 85143C24
	v_readlane_b32 s82, v3, 15                                 // 00000000E098: D2890052 00011F03
	s_and_b32 s82, s82, 0xffffff                               // 00000000E0A0: 8652FF52 00FFFFFF
	s_cmp_lt_u32 s82, s66                                      // 00000000E0A8: BF0A4252
	s_cselect_b32 s21, s36, s60                                // 00000000E0AC: 85153C24
	s_mov_b64 exec, s[20:21]                                   // 00000000E0B0: BEFE0114
	global_atomic_add_f32 v6, v143, s[8:9] offset:8            // 00000000E0B4: DD348008 00088F06
	global_atomic_add_f32 v6, v147, s[8:9] offset:264          // 00000000E0BC: DD348108 00089306
	s_mov_b64 exec, s[36:37]                                   // 00000000E0C4: BEFE0124
	v_mov_b32_e32 v6, v62                                      // 00000000E0C8: 7E0C033E
	s_mov_b64 s[60:61], 0                                      // 00000000E0CC: BEBC0180
	v_readlane_b32 s82, v3, 16                                 // 00000000E0D0: D2890052 00012103
	s_and_b32 s82, s82, 0xffffff                               // 00000000E0D8: 8652FF52 00FFFFFF
	s_cmp_lt_u32 s82, s66                                      // 00000000E0E0: BF0A4252
	s_cselect_b32 s20, s36, s60                                // 00000000E0E4: 85143C24
	v_readlane_b32 s82, v3, 17                                 // 00000000E0E8: D2890052 00012303
	s_and_b32 s82, s82, 0xffffff                               // 00000000E0F0: 8652FF52 00FFFFFF
	s_cmp_lt_u32 s82, s66                                      // 00000000E0F8: BF0A4252
	s_cselect_b32 s21, s36, s60                                // 00000000E0FC: 85153C24
	s_mov_b64 exec, s[20:21]                                   // 00000000E100: BEFE0114
	global_atomic_add_f32 v6, v150, s[8:9] offset:8            // 00000000E104: DD348008 00089606
	global_atomic_add_f32 v6, v154, s[8:9] offset:264          // 00000000E10C: DD348108 00089A06
	s_mov_b64 exec, s[36:37]                                   // 00000000E114: BEFE0124
	v_mov_b32_e32 v6, v63                                      // 00000000E118: 7E0C033F
	s_mov_b64 s[60:61], 0                                      // 00000000E11C: BEBC0180
	v_readlane_b32 s82, v3, 18                                 // 00000000E120: D2890052 00012503
	s_and_b32 s82, s82, 0xffffff                               // 00000000E128: 8652FF52 00FFFFFF
	s_cmp_lt_u32 s82, s66                                      // 00000000E130: BF0A4252
	s_cselect_b32 s20, s36, s60                                // 00000000E134: 85143C24
	v_readlane_b32 s82, v3, 19                                 // 00000000E138: D2890052 00012703
	s_and_b32 s82, s82, 0xffffff                               // 00000000E140: 8652FF52 00FFFFFF
	s_cmp_lt_u32 s82, s66                                      // 00000000E148: BF0A4252
	s_cselect_b32 s21, s36, s60                                // 00000000E14C: 85153C24
	s_mov_b64 exec, s[20:21]                                   // 00000000E150: BEFE0114
	global_atomic_add_f32 v6, v151, s[8:9] offset:8            // 00000000E154: DD348008 00089706
	global_atomic_add_f32 v6, v155, s[8:9] offset:264          // 00000000E15C: DD348108 00089B06
	s_mov_b64 exec, s[36:37]                                   // 00000000E164: BEFE0124
	v_mov_b32_e32 v6, v64                                      // 00000000E168: 7E0C0340
	s_mov_b64 s[60:61], 0                                      // 00000000E16C: BEBC0180
	v_readlane_b32 s82, v3, 20                                 // 00000000E170: D2890052 00012903
	s_and_b32 s82, s82, 0xffffff                               // 00000000E178: 8652FF52 00FFFFFF
	s_cmp_lt_u32 s82, s66                                      // 00000000E180: BF0A4252
	s_cselect_b32 s20, s36, s60                                // 00000000E184: 85143C24
	v_readlane_b32 s82, v3, 21                                 // 00000000E188: D2890052 00012B03
	s_and_b32 s82, s82, 0xffffff                               // 00000000E190: 8652FF52 00FFFFFF
	s_cmp_lt_u32 s82, s66                                      // 00000000E198: BF0A4252
	s_cselect_b32 s21, s36, s60                                // 00000000E19C: 85153C24
	s_mov_b64 exec, s[20:21]                                   // 00000000E1A0: BEFE0114
	global_atomic_add_f32 v6, v158, s[8:9] offset:8            // 00000000E1A4: DD348008 00089E06
	global_atomic_add_f32 v6, v162, s[8:9] offset:264          // 00000000E1AC: DD348108 0008A206
	s_mov_b64 exec, s[36:37]                                   // 00000000E1B4: BEFE0124
	v_mov_b32_e32 v6, v65                                      // 00000000E1B8: 7E0C0341
	s_mov_b64 s[60:61], 0                                      // 00000000E1BC: BEBC0180
	v_readlane_b32 s82, v3, 22                                 // 00000000E1C0: D2890052 00012D03
	s_and_b32 s82, s82, 0xffffff                               // 00000000E1C8: 8652FF52 00FFFFFF
	s_cmp_lt_u32 s82, s66                                      // 00000000E1D0: BF0A4252
	s_cselect_b32 s20, s36, s60                                // 00000000E1D4: 85143C24
	v_readlane_b32 s82, v3, 23                                 // 00000000E1D8: D2890052 00012F03
	s_and_b32 s82, s82, 0xffffff                               // 00000000E1E0: 8652FF52 00FFFFFF
	s_cmp_lt_u32 s82, s66                                      // 00000000E1E8: BF0A4252
	s_cselect_b32 s21, s36, s60                                // 00000000E1EC: 85153C24
	s_mov_b64 exec, s[20:21]                                   // 00000000E1F0: BEFE0114
	global_atomic_add_f32 v6, v159, s[8:9] offset:8            // 00000000E1F4: DD348008 00089F06
	global_atomic_add_f32 v6, v163, s[8:9] offset:264          // 00000000E1FC: DD348108 0008A306
	s_mov_b64 exec, s[36:37]                                   // 00000000E204: BEFE0124
	s_branch label_2E06                                        // 00000000E208: BF820000

000000000000e20c <label_2E06>:
	s_waitcnt vmcnt(0) expcnt(0) lgkmcnt(0)                    // 00000000E20C: BF8C0000
	s_endpgm                                                   // 00000000E210: BF810000
